;; amdgpu-corpus repo=ROCm/rocFFT kind=compiled arch=gfx1201 opt=O3
	.text
	.amdgcn_target "amdgcn-amd-amdhsa--gfx1201"
	.amdhsa_code_object_version 6
	.protected	fft_rtc_fwd_len2880_factors_10_6_6_2_2_2_wgs_96_tpt_96_halfLds_half_op_CI_CI_unitstride_sbrr_dirReg ; -- Begin function fft_rtc_fwd_len2880_factors_10_6_6_2_2_2_wgs_96_tpt_96_halfLds_half_op_CI_CI_unitstride_sbrr_dirReg
	.globl	fft_rtc_fwd_len2880_factors_10_6_6_2_2_2_wgs_96_tpt_96_halfLds_half_op_CI_CI_unitstride_sbrr_dirReg
	.p2align	8
	.type	fft_rtc_fwd_len2880_factors_10_6_6_2_2_2_wgs_96_tpt_96_halfLds_half_op_CI_CI_unitstride_sbrr_dirReg,@function
fft_rtc_fwd_len2880_factors_10_6_6_2_2_2_wgs_96_tpt_96_halfLds_half_op_CI_CI_unitstride_sbrr_dirReg: ; @fft_rtc_fwd_len2880_factors_10_6_6_2_2_2_wgs_96_tpt_96_halfLds_half_op_CI_CI_unitstride_sbrr_dirReg
; %bb.0:
	s_clause 0x2
	s_load_b128 s[8:11], s[0:1], 0x0
	s_load_b128 s[4:7], s[0:1], 0x58
	;; [unrolled: 1-line block ×3, first 2 shown]
	v_mul_u32_u24_e32 v1, 0x2ab, v0
	v_mov_b32_e32 v11, 0
	v_mov_b32_e32 v12, 0
	s_delay_alu instid0(VALU_DEP_3) | instskip(SKIP_1) | instid1(VALU_DEP_1)
	v_lshrrev_b32_e32 v2, 16, v1
	v_mov_b32_e32 v1, 0
	v_dual_mov_b32 v8, v1 :: v_dual_add_nc_u32 v7, ttmp9, v2
	s_wait_kmcnt 0x0
	v_cmp_lt_u64_e64 s2, s[10:11], 2
	s_delay_alu instid0(VALU_DEP_1)
	s_and_b32 vcc_lo, exec_lo, s2
	s_cbranch_vccnz .LBB0_8
; %bb.1:
	s_load_b64 s[2:3], s[0:1], 0x10
	v_mov_b32_e32 v11, 0
	v_mov_b32_e32 v12, 0
	s_delay_alu instid0(VALU_DEP_2)
	v_mov_b32_e32 v3, v11
	s_add_nc_u64 s[16:17], s[14:15], 8
	s_add_nc_u64 s[18:19], s[12:13], 8
	s_mov_b64 s[20:21], 1
	v_mov_b32_e32 v4, v12
	s_wait_kmcnt 0x0
	s_add_nc_u64 s[22:23], s[2:3], 8
	s_mov_b32 s3, 0
.LBB0_2:                                ; =>This Inner Loop Header: Depth=1
	s_load_b64 s[24:25], s[22:23], 0x0
                                        ; implicit-def: $vgpr5_vgpr6
	s_mov_b32 s2, exec_lo
	s_wait_kmcnt 0x0
	v_or_b32_e32 v2, s25, v8
	s_delay_alu instid0(VALU_DEP_1)
	v_cmpx_ne_u64_e32 0, v[1:2]
	s_wait_alu 0xfffe
	s_xor_b32 s26, exec_lo, s2
	s_cbranch_execz .LBB0_4
; %bb.3:                                ;   in Loop: Header=BB0_2 Depth=1
	s_cvt_f32_u32 s2, s24
	s_cvt_f32_u32 s27, s25
	s_sub_nc_u64 s[30:31], 0, s[24:25]
	s_wait_alu 0xfffe
	s_delay_alu instid0(SALU_CYCLE_1) | instskip(SKIP_1) | instid1(SALU_CYCLE_2)
	s_fmamk_f32 s2, s27, 0x4f800000, s2
	s_wait_alu 0xfffe
	v_s_rcp_f32 s2, s2
	s_delay_alu instid0(TRANS32_DEP_1) | instskip(SKIP_1) | instid1(SALU_CYCLE_2)
	s_mul_f32 s2, s2, 0x5f7ffffc
	s_wait_alu 0xfffe
	s_mul_f32 s27, s2, 0x2f800000
	s_wait_alu 0xfffe
	s_delay_alu instid0(SALU_CYCLE_2) | instskip(SKIP_1) | instid1(SALU_CYCLE_2)
	s_trunc_f32 s27, s27
	s_wait_alu 0xfffe
	s_fmamk_f32 s2, s27, 0xcf800000, s2
	s_cvt_u32_f32 s29, s27
	s_wait_alu 0xfffe
	s_delay_alu instid0(SALU_CYCLE_1) | instskip(SKIP_1) | instid1(SALU_CYCLE_2)
	s_cvt_u32_f32 s28, s2
	s_wait_alu 0xfffe
	s_mul_u64 s[34:35], s[30:31], s[28:29]
	s_wait_alu 0xfffe
	s_mul_hi_u32 s37, s28, s35
	s_mul_i32 s36, s28, s35
	s_mul_hi_u32 s2, s28, s34
	s_mul_i32 s33, s29, s34
	s_wait_alu 0xfffe
	s_add_nc_u64 s[36:37], s[2:3], s[36:37]
	s_mul_hi_u32 s27, s29, s34
	s_mul_hi_u32 s38, s29, s35
	s_add_co_u32 s2, s36, s33
	s_wait_alu 0xfffe
	s_add_co_ci_u32 s2, s37, s27
	s_mul_i32 s34, s29, s35
	s_add_co_ci_u32 s35, s38, 0
	s_wait_alu 0xfffe
	s_add_nc_u64 s[34:35], s[2:3], s[34:35]
	s_wait_alu 0xfffe
	v_add_co_u32 v2, s2, s28, s34
	s_delay_alu instid0(VALU_DEP_1) | instskip(SKIP_1) | instid1(VALU_DEP_1)
	s_cmp_lg_u32 s2, 0
	s_add_co_ci_u32 s29, s29, s35
	v_readfirstlane_b32 s28, v2
	s_wait_alu 0xfffe
	s_delay_alu instid0(VALU_DEP_1)
	s_mul_u64 s[30:31], s[30:31], s[28:29]
	s_wait_alu 0xfffe
	s_mul_hi_u32 s35, s28, s31
	s_mul_i32 s34, s28, s31
	s_mul_hi_u32 s2, s28, s30
	s_mul_i32 s33, s29, s30
	s_wait_alu 0xfffe
	s_add_nc_u64 s[34:35], s[2:3], s[34:35]
	s_mul_hi_u32 s27, s29, s30
	s_mul_hi_u32 s28, s29, s31
	s_wait_alu 0xfffe
	s_add_co_u32 s2, s34, s33
	s_add_co_ci_u32 s2, s35, s27
	s_mul_i32 s30, s29, s31
	s_add_co_ci_u32 s31, s28, 0
	s_wait_alu 0xfffe
	s_add_nc_u64 s[30:31], s[2:3], s[30:31]
	s_wait_alu 0xfffe
	v_add_co_u32 v2, s2, v2, s30
	s_delay_alu instid0(VALU_DEP_1) | instskip(SKIP_1) | instid1(VALU_DEP_1)
	s_cmp_lg_u32 s2, 0
	s_add_co_ci_u32 s2, s29, s31
	v_mul_hi_u32 v15, v7, v2
	s_wait_alu 0xfffe
	v_mad_co_u64_u32 v[5:6], null, v7, s2, 0
	v_mad_co_u64_u32 v[9:10], null, v8, v2, 0
	;; [unrolled: 1-line block ×3, first 2 shown]
	s_delay_alu instid0(VALU_DEP_3) | instskip(SKIP_1) | instid1(VALU_DEP_4)
	v_add_co_u32 v2, vcc_lo, v15, v5
	s_wait_alu 0xfffd
	v_add_co_ci_u32_e32 v5, vcc_lo, 0, v6, vcc_lo
	s_delay_alu instid0(VALU_DEP_2) | instskip(SKIP_1) | instid1(VALU_DEP_2)
	v_add_co_u32 v2, vcc_lo, v2, v9
	s_wait_alu 0xfffd
	v_add_co_ci_u32_e32 v2, vcc_lo, v5, v10, vcc_lo
	s_wait_alu 0xfffd
	v_add_co_ci_u32_e32 v5, vcc_lo, 0, v14, vcc_lo
	s_delay_alu instid0(VALU_DEP_2) | instskip(SKIP_1) | instid1(VALU_DEP_2)
	v_add_co_u32 v2, vcc_lo, v2, v13
	s_wait_alu 0xfffd
	v_add_co_ci_u32_e32 v9, vcc_lo, 0, v5, vcc_lo
	s_delay_alu instid0(VALU_DEP_2) | instskip(SKIP_1) | instid1(VALU_DEP_3)
	v_mul_lo_u32 v10, s25, v2
	v_mad_co_u64_u32 v[5:6], null, s24, v2, 0
	v_mul_lo_u32 v13, s24, v9
	s_delay_alu instid0(VALU_DEP_2) | instskip(NEXT) | instid1(VALU_DEP_2)
	v_sub_co_u32 v5, vcc_lo, v7, v5
	v_add3_u32 v6, v6, v13, v10
	s_delay_alu instid0(VALU_DEP_1) | instskip(SKIP_1) | instid1(VALU_DEP_1)
	v_sub_nc_u32_e32 v10, v8, v6
	s_wait_alu 0xfffd
	v_subrev_co_ci_u32_e64 v10, s2, s25, v10, vcc_lo
	v_add_co_u32 v13, s2, v2, 2
	s_wait_alu 0xf1ff
	v_add_co_ci_u32_e64 v14, s2, 0, v9, s2
	v_sub_co_u32 v15, s2, v5, s24
	v_sub_co_ci_u32_e32 v6, vcc_lo, v8, v6, vcc_lo
	s_wait_alu 0xf1ff
	v_subrev_co_ci_u32_e64 v10, s2, 0, v10, s2
	s_delay_alu instid0(VALU_DEP_3) | instskip(NEXT) | instid1(VALU_DEP_3)
	v_cmp_le_u32_e32 vcc_lo, s24, v15
	v_cmp_eq_u32_e64 s2, s25, v6
	s_wait_alu 0xfffd
	v_cndmask_b32_e64 v15, 0, -1, vcc_lo
	v_cmp_le_u32_e32 vcc_lo, s25, v10
	s_wait_alu 0xfffd
	v_cndmask_b32_e64 v16, 0, -1, vcc_lo
	v_cmp_le_u32_e32 vcc_lo, s24, v5
	;; [unrolled: 3-line block ×3, first 2 shown]
	s_wait_alu 0xfffd
	v_cndmask_b32_e64 v17, 0, -1, vcc_lo
	v_cmp_eq_u32_e32 vcc_lo, s25, v10
	s_wait_alu 0xf1ff
	s_delay_alu instid0(VALU_DEP_2)
	v_cndmask_b32_e64 v5, v17, v5, s2
	s_wait_alu 0xfffd
	v_cndmask_b32_e32 v10, v16, v15, vcc_lo
	v_add_co_u32 v15, vcc_lo, v2, 1
	s_wait_alu 0xfffd
	v_add_co_ci_u32_e32 v16, vcc_lo, 0, v9, vcc_lo
	s_delay_alu instid0(VALU_DEP_3) | instskip(SKIP_1) | instid1(VALU_DEP_2)
	v_cmp_ne_u32_e32 vcc_lo, 0, v10
	s_wait_alu 0xfffd
	v_cndmask_b32_e32 v6, v16, v14, vcc_lo
	v_cndmask_b32_e32 v10, v15, v13, vcc_lo
	v_cmp_ne_u32_e32 vcc_lo, 0, v5
	s_wait_alu 0xfffd
	s_delay_alu instid0(VALU_DEP_3) | instskip(NEXT) | instid1(VALU_DEP_3)
	v_cndmask_b32_e32 v6, v9, v6, vcc_lo
	v_cndmask_b32_e32 v5, v2, v10, vcc_lo
.LBB0_4:                                ;   in Loop: Header=BB0_2 Depth=1
	s_wait_alu 0xfffe
	s_and_not1_saveexec_b32 s2, s26
	s_cbranch_execz .LBB0_6
; %bb.5:                                ;   in Loop: Header=BB0_2 Depth=1
	v_cvt_f32_u32_e32 v2, s24
	s_sub_co_i32 s26, 0, s24
	s_delay_alu instid0(VALU_DEP_1) | instskip(NEXT) | instid1(TRANS32_DEP_1)
	v_rcp_iflag_f32_e32 v2, v2
	v_mul_f32_e32 v2, 0x4f7ffffe, v2
	s_delay_alu instid0(VALU_DEP_1) | instskip(SKIP_1) | instid1(VALU_DEP_1)
	v_cvt_u32_f32_e32 v2, v2
	s_wait_alu 0xfffe
	v_mul_lo_u32 v5, s26, v2
	s_delay_alu instid0(VALU_DEP_1) | instskip(NEXT) | instid1(VALU_DEP_1)
	v_mul_hi_u32 v5, v2, v5
	v_add_nc_u32_e32 v2, v2, v5
	s_delay_alu instid0(VALU_DEP_1) | instskip(NEXT) | instid1(VALU_DEP_1)
	v_mul_hi_u32 v2, v7, v2
	v_mul_lo_u32 v5, v2, s24
	v_add_nc_u32_e32 v6, 1, v2
	s_delay_alu instid0(VALU_DEP_2) | instskip(NEXT) | instid1(VALU_DEP_1)
	v_sub_nc_u32_e32 v5, v7, v5
	v_subrev_nc_u32_e32 v9, s24, v5
	v_cmp_le_u32_e32 vcc_lo, s24, v5
	s_wait_alu 0xfffd
	s_delay_alu instid0(VALU_DEP_2) | instskip(NEXT) | instid1(VALU_DEP_1)
	v_dual_cndmask_b32 v5, v5, v9 :: v_dual_cndmask_b32 v2, v2, v6
	v_cmp_le_u32_e32 vcc_lo, s24, v5
	s_delay_alu instid0(VALU_DEP_2) | instskip(SKIP_1) | instid1(VALU_DEP_1)
	v_add_nc_u32_e32 v6, 1, v2
	s_wait_alu 0xfffd
	v_dual_cndmask_b32 v5, v2, v6 :: v_dual_mov_b32 v6, v1
.LBB0_6:                                ;   in Loop: Header=BB0_2 Depth=1
	s_wait_alu 0xfffe
	s_or_b32 exec_lo, exec_lo, s2
	s_delay_alu instid0(VALU_DEP_1) | instskip(NEXT) | instid1(VALU_DEP_2)
	v_mul_lo_u32 v2, v6, s24
	v_mul_lo_u32 v13, v5, s25
	s_load_b64 s[26:27], s[18:19], 0x0
	v_mad_co_u64_u32 v[9:10], null, v5, s24, 0
	s_load_b64 s[24:25], s[16:17], 0x0
	s_add_nc_u64 s[20:21], s[20:21], 1
	s_add_nc_u64 s[16:17], s[16:17], 8
	s_wait_alu 0xfffe
	v_cmp_ge_u64_e64 s2, s[20:21], s[10:11]
	s_add_nc_u64 s[18:19], s[18:19], 8
	s_add_nc_u64 s[22:23], s[22:23], 8
	v_add3_u32 v2, v10, v13, v2
	v_sub_co_u32 v7, vcc_lo, v7, v9
	s_wait_alu 0xfffd
	s_delay_alu instid0(VALU_DEP_2) | instskip(SKIP_2) | instid1(VALU_DEP_1)
	v_sub_co_ci_u32_e32 v2, vcc_lo, v8, v2, vcc_lo
	s_and_b32 vcc_lo, exec_lo, s2
	s_wait_kmcnt 0x0
	v_mul_lo_u32 v8, s26, v2
	v_mul_lo_u32 v9, s27, v7
	v_mad_co_u64_u32 v[11:12], null, s26, v7, v[11:12]
	v_mul_lo_u32 v2, s24, v2
	v_mul_lo_u32 v10, s25, v7
	v_mad_co_u64_u32 v[3:4], null, s24, v7, v[3:4]
	s_delay_alu instid0(VALU_DEP_4) | instskip(NEXT) | instid1(VALU_DEP_2)
	v_add3_u32 v12, v9, v12, v8
	v_add3_u32 v4, v10, v4, v2
	s_wait_alu 0xfffe
	s_cbranch_vccnz .LBB0_9
; %bb.7:                                ;   in Loop: Header=BB0_2 Depth=1
	v_dual_mov_b32 v8, v6 :: v_dual_mov_b32 v7, v5
	s_branch .LBB0_2
.LBB0_8:
	v_dual_mov_b32 v3, v11 :: v_dual_mov_b32 v4, v12
	v_dual_mov_b32 v5, v7 :: v_dual_mov_b32 v6, v8
.LBB0_9:
	s_load_b64 s[0:1], s[0:1], 0x28
	v_mul_hi_u32 v51, 0x2aaaaab, v0
	s_lshl_b64 s[10:11], s[10:11], 3
                                        ; implicit-def: $vgpr1
                                        ; implicit-def: $vgpr9
                                        ; implicit-def: $vgpr8
                                        ; implicit-def: $vgpr7
	s_wait_kmcnt 0x0
	v_cmp_gt_u64_e32 vcc_lo, s[0:1], v[5:6]
	v_cmp_le_u64_e64 s0, s[0:1], v[5:6]
	s_delay_alu instid0(VALU_DEP_1)
	s_and_saveexec_b32 s1, s0
	s_wait_alu 0xfffe
	s_xor_b32 s0, exec_lo, s1
; %bb.10:
	v_mul_u32_u24_e32 v1, 0x60, v51
	v_mov_b32_e32 v2, 0
                                        ; implicit-def: $vgpr51
                                        ; implicit-def: $vgpr11_vgpr12
	s_delay_alu instid0(VALU_DEP_2) | instskip(NEXT) | instid1(VALU_DEP_2)
	v_sub_nc_u32_e32 v1, v0, v1
	v_mov_b32_e32 v10, v2
                                        ; implicit-def: $vgpr0
	s_delay_alu instid0(VALU_DEP_2)
	v_or_b32_e32 v9, 0x180, v1
	v_or_b32_e32 v8, 0x300, v1
	v_or_b32_e32 v7, 0x480, v1
; %bb.11:
	s_wait_alu 0xfffe
	s_or_saveexec_b32 s1, s0
	s_add_nc_u64 s[2:3], s[14:15], s[10:11]
                                        ; implicit-def: $vgpr17
                                        ; implicit-def: $vgpr15
                                        ; implicit-def: $vgpr45
                                        ; implicit-def: $vgpr43
                                        ; implicit-def: $vgpr48
                                        ; implicit-def: $vgpr30
                                        ; implicit-def: $vgpr50
                                        ; implicit-def: $vgpr39
                                        ; implicit-def: $vgpr46
                                        ; implicit-def: $vgpr40
                                        ; implicit-def: $vgpr19
                                        ; implicit-def: $vgpr13
                                        ; implicit-def: $vgpr58
                                        ; implicit-def: $vgpr49
                                        ; implicit-def: $vgpr59
                                        ; implicit-def: $vgpr55
                                        ; implicit-def: $vgpr61
                                        ; implicit-def: $vgpr56
                                        ; implicit-def: $vgpr60
                                        ; implicit-def: $vgpr57
                                        ; implicit-def: $vgpr16
                                        ; implicit-def: $vgpr14
                                        ; implicit-def: $vgpr32
                                        ; implicit-def: $vgpr33
                                        ; implicit-def: $vgpr34
                                        ; implicit-def: $vgpr31
                                        ; implicit-def: $vgpr35
                                        ; implicit-def: $vgpr36
                                        ; implicit-def: $vgpr37
                                        ; implicit-def: $vgpr38
                                        ; implicit-def: $vgpr29
                                        ; implicit-def: $vgpr23
                                        ; implicit-def: $vgpr27
                                        ; implicit-def: $vgpr28
                                        ; implicit-def: $vgpr21
                                        ; implicit-def: $vgpr47
                                        ; implicit-def: $vgpr41
                                        ; implicit-def: $vgpr42
                                        ; implicit-def: $vgpr44
                                        ; implicit-def: $vgpr20
                                        ; implicit-def: $vgpr26
                                        ; implicit-def: $vgpr22
                                        ; implicit-def: $vgpr24
                                        ; implicit-def: $vgpr25
                                        ; implicit-def: $vgpr18
	s_wait_alu 0xfffe
	s_xor_b32 exec_lo, exec_lo, s1
	s_cbranch_execz .LBB0_13
; %bb.12:
	s_add_nc_u64 s[10:11], s[12:13], s[10:11]
	v_mul_u32_u24_e32 v13, 0x60, v51
	s_load_b64 s[10:11], s[10:11], 0x0
	v_lshlrev_b64_e32 v[9:10], 2, v[11:12]
	s_wait_kmcnt 0x0
	v_mul_lo_u32 v7, s11, v5
	v_mul_lo_u32 v8, s10, v6
	v_mad_co_u64_u32 v[1:2], null, s10, v5, 0
	s_delay_alu instid0(VALU_DEP_1) | instskip(NEXT) | instid1(VALU_DEP_1)
	v_add3_u32 v2, v2, v8, v7
	v_lshlrev_b64_e32 v[7:8], 2, v[1:2]
	v_sub_nc_u32_e32 v1, v0, v13
	s_delay_alu instid0(VALU_DEP_2) | instskip(SKIP_1) | instid1(VALU_DEP_3)
	v_add_co_u32 v0, s0, s4, v7
	s_wait_alu 0xf1ff
	v_add_co_ci_u32_e64 v2, s0, s5, v8, s0
	s_delay_alu instid0(VALU_DEP_3) | instskip(NEXT) | instid1(VALU_DEP_3)
	v_lshlrev_b32_e32 v7, 2, v1
	v_add_co_u32 v0, s0, v0, v9
	s_wait_alu 0xf1ff
	s_delay_alu instid0(VALU_DEP_3) | instskip(SKIP_1) | instid1(VALU_DEP_3)
	v_add_co_ci_u32_e64 v2, s0, v2, v10, s0
	v_or_b32_e32 v9, 0x180, v1
	v_add_co_u32 v7, s0, v0, v7
	s_wait_alu 0xf1ff
	s_delay_alu instid0(VALU_DEP_3)
	v_add_co_ci_u32_e64 v8, s0, 0, v2, s0
	v_mov_b32_e32 v2, 0
	s_clause 0x1d
	global_load_b32 v15, v[7:8], off
	global_load_b32 v13, v[7:8], off offset:384
	global_load_b32 v49, v[7:8], off offset:2688
	;; [unrolled: 1-line block ×29, first 2 shown]
	v_or_b32_e32 v7, 0x480, v1
	v_mov_b32_e32 v10, v2
	v_or_b32_e32 v8, 0x300, v1
	s_wait_loadcnt 0x1d
	v_lshrrev_b32_e32 v17, 16, v15
	s_wait_loadcnt 0x1c
	v_lshrrev_b32_e32 v19, 16, v13
	;; [unrolled: 2-line block ×15, first 2 shown]
.LBB0_13:
	s_or_b32 exec_lo, exec_lo, s1
	v_add_f16_e32 v0, v30, v39
	v_add_f16_e32 v11, v15, v43
	v_sub_f16_e32 v12, v45, v46
	v_sub_f16_e32 v51, v43, v30
	v_add_f16_e32 v52, v43, v40
	v_fma_f16 v53, -0.5, v0, v15
	v_sub_f16_e32 v0, v40, v39
	v_add_f16_e32 v11, v11, v30
	v_sub_f16_e32 v54, v48, v50
	v_fmac_f16_e32 v15, -0.5, v52
	v_fmamk_f16 v62, v12, 0x3b9c, v53
	v_add_f16_e32 v0, v51, v0
	v_add_f16_e32 v51, v11, v39
	v_fmac_f16_e32 v53, 0xbb9c, v12
	v_sub_f16_e32 v52, v30, v43
	v_fmac_f16_e32 v62, 0x38b4, v54
	v_fmamk_f16 v11, v54, 0xbb9c, v15
	v_add_f16_e32 v63, v51, v40
	v_fmac_f16_e32 v53, 0xb8b4, v54
	v_sub_f16_e32 v51, v39, v40
	v_fmac_f16_e32 v15, 0x3b9c, v54
	v_add_f16_e32 v54, v17, v45
	v_add_f16_e32 v64, v48, v50
	v_fmac_f16_e32 v11, 0x38b4, v12
	v_add_f16_e32 v51, v52, v51
	v_fmac_f16_e32 v15, 0xb8b4, v12
	v_add_f16_e32 v12, v54, v48
	v_fma_f16 v64, -0.5, v64, v17
	v_sub_f16_e32 v43, v43, v40
	v_fmac_f16_e32 v62, 0x34f2, v0
	v_fmac_f16_e32 v53, 0x34f2, v0
	;; [unrolled: 1-line block ×4, first 2 shown]
	v_add_f16_e32 v0, v12, v50
	v_fmamk_f16 v12, v43, 0xbb9c, v64
	v_add_f16_e32 v40, v45, v46
	v_sub_f16_e32 v30, v30, v39
	v_sub_f16_e32 v39, v45, v48
	;; [unrolled: 1-line block ×3, first 2 shown]
	v_fmac_f16_e32 v64, 0x3b9c, v43
	v_sub_f16_e32 v45, v48, v45
	v_sub_f16_e32 v48, v50, v46
	v_fmac_f16_e32 v17, -0.5, v40
	v_fmac_f16_e32 v12, 0xb8b4, v30
	v_add_f16_e32 v39, v39, v51
	v_fmac_f16_e32 v64, 0x38b4, v30
	v_add_f16_e32 v45, v45, v48
	v_fmamk_f16 v40, v30, 0x3b9c, v17
	v_add_f16_e32 v50, v0, v46
	v_fmac_f16_e32 v12, 0x34f2, v39
	v_fmac_f16_e32 v64, 0x34f2, v39
	v_mul_f16_e32 v39, 0x34f2, v45
	v_fmac_f16_e32 v17, 0xbb9c, v30
	v_add_f16_e32 v0, v21, v23
	s_wait_loadcnt 0x2
	v_pk_add_f16 v30, v23, v29 neg_lo:[0,1] neg_hi:[0,1]
	v_pk_add_f16 v45, v28, v27 neg_lo:[0,1] neg_hi:[0,1]
	v_add_f16_e32 v46, v29, v27
	v_fmac_f16_e32 v40, 0xb8b4, v43
	v_fmac_f16_e32 v17, 0x38b4, v43
	v_add_f16_e32 v43, v0, v29
	v_pk_add_f16 v0, v29, v27 neg_lo:[0,1] neg_hi:[0,1]
	v_pk_add_f16 v30, v30, v45
	v_fma_f16 v45, -0.5, v46, v21
	v_lshrrev_b32_e32 v46, 16, v29
	v_lshrrev_b32_e32 v48, 16, v27
	v_pk_add_f16 v51, v23, v28 neg_lo:[0,1] neg_hi:[0,1]
	v_bfi_b32 v30, 0xffff, v30, v0
	v_lshrrev_b32_e32 v52, 16, v23
	v_lshrrev_b32_e32 v54, 16, v21
	v_add_f16_e32 v65, v46, v48
	v_lshrrev_b32_e32 v66, 16, v51
	v_pk_mul_f16 v30, 0x38b434f2, v30
	v_lshrrev_b32_e32 v68, 16, v28
	v_add_f16_e32 v67, v54, v52
	v_fmac_f16_e32 v54, -0.5, v65
	v_add_f16_e32 v43, v43, v27
	v_fmamk_f16 v65, v66, 0x3b9c, v45
	v_lshrrev_b32_e32 v69, 16, v30
	v_fmac_f16_e32 v45, 0xbb9c, v66
	v_fmamk_f16 v66, v51, 0xbb9c, v54
	v_sub_f16_e32 v52, v52, v46
	v_sub_f16_e32 v70, v68, v48
	v_add_f16_e32 v65, v69, v65
	v_add_f16_e32 v71, v43, v28
	v_sub_f16_e32 v43, v45, v69
	v_fmac_f16_e32 v66, 0xb8b4, v0
	v_add_f16_e32 v45, v52, v70
	v_fmac_f16_e32 v54, 0x3b9c, v51
	v_add_f16_e32 v52, v30, v65
	v_add_f16_e32 v30, v30, v43
	;; [unrolled: 1-line block ×3, first 2 shown]
	v_fmac_f16_e32 v66, 0x34f2, v45
	v_fmac_f16_e32 v54, 0x38b4, v0
	v_pk_add_f16 v65, v23, v28
	v_pk_add_f16 v67, v29, v23 neg_lo:[0,1] neg_hi:[0,1]
	v_add_f16_e32 v23, v43, v48
	v_mul_f16_e32 v29, 0x38b4, v66
	v_pk_add_f16 v69, v27, v28 neg_lo:[0,1] neg_hi:[0,1]
	v_fmac_f16_e32 v54, 0x34f2, v45
	v_mul_f16_e32 v27, 0x3a79, v30
	v_add_f16_e32 v68, v23, v68
	v_fmac_f16_e32 v29, 0x3a79, v52
	v_mul_f16_e32 v43, 0xb8b4, v52
	v_mul_f16_e32 v23, 0x3a79, v54
	v_fma_f16 v70, v54, 0x38b4, -v27
	v_add_f16_e32 v45, v63, v71
	v_add_f16_e32 v54, v55, v56
	v_sub_f16_e32 v52, v63, v71
	v_add_f16_e32 v63, v13, v49
	v_add_f16_e32 v46, v62, v29
	v_fmac_f16_e32 v43, 0x3a79, v66
	v_fma_f16 v30, v30, 0xb8b4, -v23
	v_add_f16_e32 v23, v50, v68
	v_fma_f16 v66, -0.5, v54, v13
	v_sub_f16_e32 v71, v58, v60
	v_sub_f16_e32 v54, v62, v29
	;; [unrolled: 1-line block ×3, first 2 shown]
	v_add_f16_e32 v50, v63, v55
	v_add_f16_e32 v72, v49, v57
	;; [unrolled: 1-line block ×3, first 2 shown]
	v_sub_f16_e32 v53, v53, v70
	v_fmamk_f16 v62, v71, 0x3b9c, v66
	v_sub_f16_e32 v63, v59, v61
	v_sub_f16_e32 v68, v49, v55
	;; [unrolled: 1-line block ×3, first 2 shown]
	v_fmac_f16_e32 v66, 0xbb9c, v71
	v_add_f16_e32 v50, v50, v56
	v_fmac_f16_e32 v13, -0.5, v72
	v_add_f16_e32 v27, v64, v30
	v_fmac_f16_e32 v62, 0x38b4, v63
	v_add_f16_e32 v68, v68, v70
	v_fmac_f16_e32 v66, 0xb8b4, v63
	v_sub_f16_e32 v30, v64, v30
	v_add_f16_e32 v64, v50, v57
	v_fmamk_f16 v50, v63, 0xbb9c, v13
	v_fmac_f16_e32 v13, 0x3b9c, v63
	v_add_f16_e32 v63, v19, v58
	v_fmac_f16_e32 v62, 0x34f2, v68
	v_fmac_f16_e32 v66, 0x34f2, v68
	v_add_f16_e32 v68, v59, v61
	v_sub_f16_e32 v70, v55, v49
	v_sub_f16_e32 v72, v56, v57
	v_add_f16_e32 v63, v63, v59
	v_sub_f16_e32 v57, v49, v57
	v_fma_f16 v68, -0.5, v68, v19
	v_fmac_f16_e32 v50, 0x38b4, v71
	v_add_f16_e32 v70, v70, v72
	v_fmac_f16_e32 v13, 0xb8b4, v71
	v_sub_f16_e32 v55, v55, v56
	v_add_f16_e32 v56, v63, v61
	v_add_f16_e32 v63, v58, v60
	v_fmamk_f16 v49, v57, 0xbb9c, v68
	v_fmac_f16_e32 v50, 0x34f2, v70
	v_fmac_f16_e32 v13, 0x34f2, v70
	v_sub_f16_e32 v70, v58, v59
	v_sub_f16_e32 v71, v60, v61
	v_fmac_f16_e32 v68, 0x3b9c, v57
	v_fmac_f16_e32 v19, -0.5, v63
	v_sub_f16_e32 v58, v59, v58
	v_sub_f16_e32 v59, v61, v60
	v_fmac_f16_e32 v49, 0xb8b4, v55
	v_add_f16_e32 v61, v70, v71
	v_fmac_f16_e32 v68, 0x38b4, v55
	v_fmamk_f16 v63, v55, 0x3b9c, v19
	v_add_f16_e32 v56, v56, v60
	v_add_f16_e32 v58, v58, v59
	v_fmac_f16_e32 v19, 0xbb9c, v55
	s_wait_loadcnt 0x1
	v_pk_add_f16 v55, v41, v47 neg_lo:[0,1] neg_hi:[0,1]
	v_pk_add_f16 v59, v44, v42 neg_lo:[0,1] neg_hi:[0,1]
	v_add_f16_e32 v60, v47, v42
	v_fmac_f16_e32 v49, 0x34f2, v61
	v_fmac_f16_e32 v68, 0x34f2, v61
	v_pk_add_f16 v61, v47, v42 neg_lo:[0,1] neg_hi:[0,1]
	v_pk_add_f16 v55, v55, v59
	v_fma_f16 v59, -0.5, v60, v20
	v_lshrrev_b32_e32 v60, 16, v47
	v_lshrrev_b32_e32 v70, 16, v42
	v_pk_add_f16 v71, v41, v44 neg_lo:[0,1] neg_hi:[0,1]
	v_bfi_b32 v55, 0xffff, v55, v61
	v_lshrrev_b32_e32 v72, 16, v41
	v_lshrrev_b32_e32 v73, 16, v20
	v_add_f16_e32 v74, v60, v70
	v_lshrrev_b32_e32 v75, 16, v71
	v_pk_mul_f16 v55, 0x38b434f2, v55
	v_lshrrev_b32_e32 v77, 16, v44
	v_add_f16_e32 v76, v73, v72
	v_fmac_f16_e32 v73, -0.5, v74
	v_fmamk_f16 v74, v75, 0x3b9c, v59
	v_lshrrev_b32_e32 v78, 16, v55
	v_fmac_f16_e32 v59, 0xbb9c, v75
	v_sub_f16_e32 v72, v72, v60
	v_fmamk_f16 v75, v71, 0xbb9c, v73
	v_sub_f16_e32 v79, v77, v70
	v_fmac_f16_e32 v63, 0xb8b4, v57
	v_fmac_f16_e32 v19, 0x38b4, v57
	v_add_f16_e32 v57, v20, v41
	v_add_f16_e32 v74, v78, v74
	v_sub_f16_e32 v59, v59, v78
	v_fmac_f16_e32 v75, 0xb8b4, v61
	v_add_f16_e32 v72, v72, v79
	v_fmac_f16_e32 v73, 0x3b9c, v71
	v_add_f16_e32 v57, v57, v47
	v_add_f16_e32 v74, v55, v74
	;; [unrolled: 1-line block ×3, first 2 shown]
	v_fmac_f16_e32 v75, 0x34f2, v72
	v_add_f16_e32 v59, v76, v60
	v_fmac_f16_e32 v73, 0x38b4, v61
	v_add_f16_e32 v57, v57, v42
	v_pk_add_f16 v60, v41, v44
	v_pk_add_f16 v76, v47, v41 neg_lo:[0,1] neg_hi:[0,1]
	v_mul_f16_e32 v47, 0x38b4, v75
	v_add_f16_e32 v41, v59, v70
	v_fmac_f16_e32 v73, 0x34f2, v72
	v_mul_f16_e32 v59, 0x3a79, v55
	v_add_f16_e32 v57, v57, v44
	v_pk_add_f16 v70, v42, v44 neg_lo:[0,1] neg_hi:[0,1]
	v_fmac_f16_e32 v47, 0x3a79, v74
	v_mul_f16_e32 v74, 0xb8b4, v74
	v_fma_f16 v59, v73, 0x38b4, -v59
	v_add_f16_e32 v44, v31, v36
	v_mul_f16_e32 v42, 0x3a79, v73
	v_sub_f16_e32 v80, v32, v37
	v_fmac_f16_e32 v74, 0x3a79, v75
	v_add_f16_e32 v73, v66, v59
	v_add_f16_e32 v75, v14, v33
	v_fma_f16 v79, -0.5, v44, v14
	v_sub_f16_e32 v59, v66, v59
	v_add_f16_e32 v66, v33, v38
	v_add_f16_e32 v72, v41, v77
	;; [unrolled: 1-line block ×4, first 2 shown]
	v_fma_f16 v55, v55, 0xb8b4, -v42
	v_sub_f16_e32 v57, v64, v57
	v_sub_f16_e32 v62, v62, v47
	v_add_f16_e32 v47, v75, v31
	v_fmamk_f16 v64, v80, 0x3b9c, v79
	v_sub_f16_e32 v75, v34, v35
	v_fmac_f16_e32 v14, -0.5, v66
	v_fmac_f16_e32 v79, 0xbb9c, v80
	v_add_f16_e32 v41, v56, v72
	v_add_f16_e32 v44, v68, v55
	;; [unrolled: 1-line block ×3, first 2 shown]
	v_fmac_f16_e32 v64, 0x38b4, v75
	v_sub_f16_e32 v47, v56, v72
	v_sub_f16_e32 v55, v68, v55
	v_fmamk_f16 v66, v75, 0xbb9c, v14
	v_sub_f16_e32 v68, v31, v33
	v_sub_f16_e32 v72, v36, v38
	v_fmac_f16_e32 v14, 0x3b9c, v75
	v_fmac_f16_e32 v79, 0xb8b4, v75
	v_add_f16_e32 v75, v34, v35
	v_sub_f16_e32 v81, v33, v31
	v_fmac_f16_e32 v66, 0x38b4, v80
	v_add_f16_e32 v68, v68, v72
	v_fmac_f16_e32 v14, 0xb8b4, v80
	v_fma_f16 v75, -0.5, v75, v16
	v_sub_f16_e32 v33, v33, v38
	v_sub_f16_e32 v82, v38, v36
	v_add_f16_e32 v72, v16, v32
	v_fmac_f16_e32 v66, 0x34f2, v68
	v_fmac_f16_e32 v14, 0x34f2, v68
	v_fmamk_f16 v68, v33, 0xbb9c, v75
	v_sub_f16_e32 v31, v31, v36
	v_sub_f16_e32 v36, v32, v34
	;; [unrolled: 1-line block ×3, first 2 shown]
	v_fmac_f16_e32 v75, 0x3b9c, v33
	v_add_f16_e32 v56, v83, v38
	v_add_f16_e32 v38, v72, v34
	;; [unrolled: 1-line block ×3, first 2 shown]
	v_fmac_f16_e32 v68, 0xb8b4, v31
	v_add_f16_e32 v36, v36, v80
	v_sub_f16_e32 v32, v34, v32
	v_sub_f16_e32 v34, v35, v37
	v_fmac_f16_e32 v75, 0x38b4, v31
	v_add_f16_e32 v38, v38, v35
	v_fmac_f16_e32 v16, -0.5, v72
	v_fmac_f16_e32 v68, 0x34f2, v36
	v_add_f16_e32 v32, v32, v34
	v_fmac_f16_e32 v75, 0x34f2, v36
	s_wait_loadcnt 0x0
	v_pk_add_f16 v34, v22, v26 neg_lo:[0,1] neg_hi:[0,1]
	v_pk_add_f16 v36, v25, v24 neg_lo:[0,1] neg_hi:[0,1]
	v_fmamk_f16 v35, v31, 0x3b9c, v16
	v_add_f16_e32 v37, v38, v37
	v_fmac_f16_e32 v16, 0xbb9c, v31
	v_pk_add_f16 v38, v26, v24 neg_lo:[0,1] neg_hi:[0,1]
	v_pk_add_f16 v34, v34, v36
	v_add_f16_e32 v81, v81, v82
	v_fmac_f16_e32 v35, 0xb8b4, v33
	v_add_f16_e32 v36, v26, v24
	v_fmac_f16_e32 v16, 0x38b4, v33
	v_pk_add_f16 v33, v22, v25 neg_lo:[0,1] neg_hi:[0,1]
	v_bfi_b32 v34, 0xffff, v34, v38
	v_lshrrev_b32_e32 v72, 16, v26
	v_lshrrev_b32_e32 v80, 16, v24
	v_fmac_f16_e32 v64, 0x34f2, v81
	v_fmac_f16_e32 v79, 0x34f2, v81
	v_fma_f16 v36, -0.5, v36, v18
	v_lshrrev_b32_e32 v81, 16, v33
	v_pk_mul_f16 v34, 0x38b434f2, v34
	v_lshrrev_b32_e32 v82, 16, v22
	v_lshrrev_b32_e32 v83, 16, v18
	v_add_f16_e32 v84, v72, v80
	v_fmamk_f16 v85, v81, 0x3b9c, v36
	v_lshrrev_b32_e32 v86, 16, v34
	v_add_f16_e32 v31, v18, v22
	v_add_f16_e32 v87, v83, v82
	v_fmac_f16_e32 v83, -0.5, v84
	v_lshrrev_b32_e32 v84, 16, v25
	v_fmac_f16_e32 v36, 0xbb9c, v81
	v_add_f16_e32 v81, v86, v85
	v_sub_f16_e32 v82, v82, v72
	v_fmamk_f16 v85, v33, 0xbb9c, v83
	v_sub_f16_e32 v88, v84, v80
	v_add_f16_e32 v31, v31, v26
	v_fmac_f16_e32 v83, 0x3b9c, v33
	v_sub_f16_e32 v36, v36, v86
	v_fmac_f16_e32 v85, 0xb8b4, v38
	v_add_f16_e32 v82, v82, v88
	v_add_f16_e32 v31, v31, v24
	v_fmac_f16_e32 v83, 0x38b4, v38
	v_add_f16_e32 v81, v34, v81
	v_add_f16_e32 v34, v34, v36
	v_fmac_f16_e32 v85, 0x34f2, v82
	v_add_f16_e32 v31, v31, v25
	v_add_f16_e32 v36, v87, v72
	v_pk_add_f16 v72, v22, v25
	v_pk_add_f16 v24, v24, v25 neg_lo:[0,1] neg_hi:[0,1]
	v_fmac_f16_e32 v83, 0x34f2, v82
	v_mul_f16_e32 v25, 0x38b4, v85
	v_pk_add_f16 v22, v26, v22 neg_lo:[0,1] neg_hi:[0,1]
	v_add_f16_e32 v26, v36, v80
	v_mul_f16_e32 v36, 0x3a79, v34
	v_mul_f16_e32 v82, 0x3a79, v83
	v_fmac_f16_e32 v25, 0x3a79, v81
	v_pk_fma_f16 v21, v65, 0.5, v21 op_sel_hi:[1,0,1] neg_lo:[1,0,0] neg_hi:[1,0,0]
	v_pk_mul_f16 v0, 0x3b9c, v0 op_sel_hi:[0,1]
	v_mul_f16_e32 v80, 0xb8b4, v81
	v_fma_f16 v36, v83, 0x38b4, -v36
	v_add_f16_e32 v81, v56, v31
	v_fma_f16 v34, v34, 0xb8b4, -v82
	v_add_f16_e32 v82, v64, v25
	v_sub_f16_e32 v31, v56, v31
	v_sub_f16_e32 v25, v64, v25
	v_mul_u32_u24_e32 v56, 10, v1
	v_pk_mul_f16 v51, 0x38b4, v51 op_sel_hi:[0,1]
	v_pk_add_f16 v64, v21, v0 op_sel:[0,1] op_sel_hi:[1,0] neg_lo:[0,1] neg_hi:[0,1]
	v_pk_add_f16 v0, v0, v21 op_sel:[1,0] op_sel_hi:[0,1]
	v_add_f16_e32 v26, v26, v84
	v_add_f16_e32 v83, v79, v36
	v_sub_f16_e32 v21, v79, v36
	v_lshl_add_u32 v36, v56, 1, 0
	v_pk_add_f16 v56, v67, v69
	v_pk_add_f16 v64, v51, v64 op_sel:[1,0] op_sel_hi:[0,1]
	v_pk_add_f16 v0, v0, v51 op_sel:[0,1] op_sel_hi:[1,0] neg_lo:[0,1] neg_hi:[0,1]
	v_add_f16_e32 v84, v37, v26
	v_add_f16_e32 v86, v75, v34
	v_sub_f16_e32 v26, v37, v26
	v_sub_f16_e32 v37, v75, v34
	v_pk_fma_f16 v34, 0x34f2, v56, v64 op_sel_hi:[0,1,1]
	v_pk_fma_f16 v56, 0x34f2, v56, v0 op_sel_hi:[0,1,1]
	v_pack_b32_f16 v40, v17, v40
	v_pk_fma_f16 v20, v60, 0.5, v20 op_sel_hi:[1,0,1] neg_lo:[1,0,0] neg_hi:[1,0,0]
	v_pk_mul_f16 v60, 0x3b9c, v61 op_sel_hi:[0,1]
	v_mul_f16_e32 v69, 0x34f2, v34
	v_lshrrev_b32_e32 v75, 16, v56
	v_mul_f16_e32 v79, 0x34f2, v56
	v_lshrrev_b32_e32 v87, 16, v34
	v_pk_mul_f16 v34, 0x34f23b9c, v34
	v_pk_add_f16 v39, v39, v40 op_sel_hi:[0,1]
	v_fmac_f16_e32 v69, 0x3b9c, v75
	v_pack_b32_f16 v45, v45, v46
	v_fma_f16 v75, v87, 0x3b9c, -v79
	v_pk_fma_f16 v34, 0x34f2bb9c, v56, v34 op_sel:[0,0,1] op_sel_hi:[1,1,0] neg_lo:[0,0,1] neg_hi:[0,0,1]
	v_pack_b32_f16 v46, v48, v52
	v_add_f16_e32 v40, v11, v69
	v_sub_f16_e32 v11, v11, v69
	v_add_f16_e32 v56, v15, v75
	v_pk_mul_f16 v69, 0x38b4, v71 op_sel_hi:[0,1]
	v_pk_add_f16 v71, v20, v60 op_sel:[0,1] op_sel_hi:[1,0] neg_lo:[0,1] neg_hi:[0,1]
	v_pk_add_f16 v20, v60, v20 op_sel:[1,0] op_sel_hi:[0,1]
	v_sub_f16_e32 v15, v15, v75
	v_pack_b32_f16 v40, v40, v56
	v_pk_add_f16 v56, v76, v70
	v_pk_add_f16 v70, v69, v71 op_sel:[1,0] op_sel_hi:[0,1]
	v_pk_add_f16 v20, v20, v69 op_sel:[0,1] op_sel_hi:[1,0] neg_lo:[0,1] neg_hi:[0,1]
	v_add_f16_e32 v28, v12, v43
	v_mul_f16_e32 v58, 0x34f2, v58
	v_pk_add_f16 v61, v39, v34
	v_pk_fma_f16 v48, 0x34f2, v56, v70 op_sel_hi:[0,1,1]
	v_pk_fma_f16 v20, 0x34f2, v56, v20 op_sel_hi:[0,1,1]
	v_sub_f16_e32 v60, v39, v34
	v_pack_b32_f16 v15, v15, v53
	v_bfi_b32 v12, 0xffff, v12, v39
	v_bfi_b32 v34, 0xffff, v43, v34
	v_mul_f16_e32 v39, 0x34f2, v48
	v_lshrrev_b32_e32 v43, 16, v20
	v_pack_b32_f16 v19, v19, v63
	v_mul_f16_e32 v52, 0x34f2, v20
	v_lshrrev_b32_e32 v53, 16, v48
	v_pk_mul_f16 v48, 0x34f23b9c, v48
	v_fmac_f16_e32 v39, 0x3b9c, v43
	v_pk_add_f16 v43, v12, v34 neg_lo:[0,1] neg_hi:[0,1]
	v_pk_add_f16 v12, v58, v19 op_sel_hi:[0,1]
	v_fma_f16 v19, v53, 0x3b9c, -v52
	v_pk_fma_f16 v18, v72, 0.5, v18 op_sel_hi:[1,0,1] neg_lo:[1,0,0] neg_hi:[1,0,0]
	v_pk_mul_f16 v38, 0x3b9c, v38 op_sel_hi:[0,1]
	v_pk_fma_f16 v20, 0x34f2bb9c, v20, v48 op_sel:[0,0,1] op_sel_hi:[1,1,0] neg_lo:[0,0,1] neg_hi:[0,0,1]
	v_pk_mul_f16 v33, 0x38b4, v33 op_sel_hi:[0,1]
	v_add_f16_e32 v48, v13, v19
	v_sub_f16_e32 v13, v13, v19
	v_pk_add_f16 v19, v38, v18 op_sel:[1,0] op_sel_hi:[0,1]
	v_pk_add_f16 v18, v18, v38 op_sel:[0,1] op_sel_hi:[1,0] neg_lo:[0,1] neg_hi:[0,1]
	v_pk_add_f16 v22, v22, v24
	v_pack_b32_f16 v11, v54, v11
	v_pack_b32_f16 v13, v13, v59
	v_pk_add_f16 v19, v19, v33 op_sel:[0,1] op_sel_hi:[1,0] neg_lo:[0,1] neg_hi:[0,1]
	v_pk_add_f16 v18, v33, v18 op_sel:[1,0] op_sel_hi:[0,1]
	s_load_b64 s[2:3], s[2:3], 0x0
	ds_store_2addr_b32 v36, v45, v40 offset1:1
	ds_store_2addr_b32 v36, v46, v11 offset0:2 offset1:3
	ds_store_b32 v36, v15 offset:16
	ds_store_b32 v36, v13 offset:1936
	v_add_f16_e32 v34, v50, v39
	v_pk_fma_f16 v19, 0x34f2, v22, v19 op_sel_hi:[0,1,1]
	v_pk_fma_f16 v18, 0x34f2, v22, v18 op_sel_hi:[0,1,1]
	v_pk_add_f16 v52, v12, v20
	v_sub_f16_e32 v39, v50, v39
	v_sub_f16_e32 v50, v12, v20
	v_lshrrev_b32_e32 v13, 16, v19
	v_mul_f16_e32 v11, 0x34f2, v18
	v_mul_f16_e32 v15, 0x34f2, v19
	v_lshrrev_b32_e32 v22, 16, v18
	v_pk_mul_f16 v18, 0x34f23b9c, v18
	v_bfi_b32 v12, 0xffff, v49, v12
	v_fmac_f16_e32 v11, 0x3b9c, v13
	v_add_nc_u32_e32 v64, 0x788, v36
	v_fma_f16 v13, v22, 0x3b9c, -v15
	v_bfi_b32 v15, 0xffff, v74, v20
	v_pk_fma_f16 v18, 0x34f2bb9c, v19, v18 op_sel:[0,0,1] op_sel_hi:[1,1,0] neg_lo:[0,0,1] neg_hi:[0,0,1]
	v_add_f16_e32 v19, v66, v11
	v_sub_f16_e32 v11, v66, v11
	v_add_f16_e32 v20, v14, v13
	v_pk_add_f16 v15, v12, v15 neg_lo:[0,1] neg_hi:[0,1]
	v_sub_f16_e32 v12, v14, v13
	v_pack_b32_f16 v24, v62, v39
	v_pack_b32_f16 v33, v73, v57
	v_add_nc_u32_e32 v65, 0xf00, v36
	v_pack_b32_f16 v13, v19, v20
	v_pack_b32_f16 v14, v81, v82
	v_add_nc_u32_e32 v67, 0xf08, v36
	;; [unrolled: 3-line block ×3, first 2 shown]
	v_pack_b32_f16 v34, v34, v48
	v_pack_b32_f16 v38, v77, v78
	;; [unrolled: 1-line block ×3, first 2 shown]
	ds_store_2addr_b32 v64, v33, v24 offset1:1
	ds_store_2addr_b32 v65, v14, v13 offset1:1
	;; [unrolled: 1-line block ×4, first 2 shown]
	ds_store_b32 v36, v12 offset:3856
	v_and_b32_e32 v13, 0xff, v1
	v_mul_f16_e32 v32, 0x34f2, v32
	v_pack_b32_f16 v16, v16, v35
	v_pack_b32_f16 v19, v23, v28
	v_mad_i32_i24 v0, 0xffffffee, v1, v36
	v_mul_lo_u16 v13, 0xcd, v13
	v_lshl_add_u32 v17, v9, 1, 0
	v_pk_add_f16 v16, v32, v16 op_sel_hi:[0,1]
	v_alignbit_b32 v14, v61, v61, 16
	v_pack_b32_f16 v23, v60, v30
	v_lshrrev_b16 v21, 11, v13
	v_pack_b32_f16 v13, v27, v29
	v_pk_add_f16 v22, v16, v18
	v_pack_b32_f16 v30, v50, v55
	v_add_f16_e32 v42, v49, v74
	v_mul_lo_u16 v28, v21, 10
	v_sub_f16_e32 v20, v16, v18
	global_wb scope:SCOPE_SE
	s_wait_dscnt 0x0
	s_wait_kmcnt 0x0
	s_barrier_signal -1
	s_barrier_wait -1
	v_sub_nc_u16 v28, v1, v28
	global_inv scope:SCOPE_SE
	ds_load_u16 v32, v0 offset:3072
	ds_load_u16 v34, v0
	ds_load_u16 v31, v0 offset:192
	ds_load_u16 v25, v0 offset:384
	;; [unrolled: 1-line block ×26, first 2 shown]
	ds_load_u16 v12, v17
	ds_load_u16 v81, v0 offset:5568
	global_wb scope:SCOPE_SE
	s_wait_dscnt 0x0
	s_barrier_signal -1
	s_barrier_wait -1
	global_inv scope:SCOPE_SE
	ds_store_2addr_b32 v36, v19, v14 offset1:1
	ds_store_2addr_b32 v36, v13, v43 offset0:2 offset1:3
	ds_store_b32 v36, v23 offset:16
	ds_store_b32 v36, v30 offset:1936
	v_alignbit_b32 v13, v22, v22, 16
	v_and_b32_e32 v22, 0xff, v28
	v_fmac_f16_e32 v80, 0x3a79, v85
	v_pack_b32_f16 v19, v20, v37
	v_bfi_b32 v16, 0xffff, v68, v16
	v_pack_b32_f16 v29, v44, v47
	v_mul_u32_u24_e32 v20, 5, v22
	v_add_f16_e32 v85, v68, v80
	v_bfi_b32 v18, 0xffff, v80, v18
	v_alignbit_b32 v24, v52, v52, 16
	v_pack_b32_f16 v27, v41, v42
	v_lshlrev_b32_e32 v20, 2, v20
	v_pack_b32_f16 v14, v84, v85
	v_pk_add_f16 v16, v16, v18 neg_lo:[0,1] neg_hi:[0,1]
	v_pack_b32_f16 v18, v86, v26
	ds_store_2addr_b32 v64, v29, v15 offset1:1
	ds_store_2addr_b32 v65, v14, v13 offset1:1
	;; [unrolled: 1-line block ×4, first 2 shown]
	ds_store_b32 v36, v19 offset:3856
	global_wb scope:SCOPE_SE
	s_wait_dscnt 0x0
	s_barrier_signal -1
	s_barrier_wait -1
	global_inv scope:SCOPE_SE
	global_load_b128 v[35:38], v20, s[8:9]
	v_add_nc_u16 v16, v1, 0x60
	v_and_b32_e32 v21, 0xffff, v21
	v_lshlrev_b32_e32 v22, 1, v22
	v_cmp_gt_u32_e64 s0, 60, v1
	s_delay_alu instid0(VALU_DEP_4) | instskip(NEXT) | instid1(VALU_DEP_4)
	v_and_b32_e32 v19, 0xff, v16
	v_mul_u32_u24_e32 v21, 0x78, v21
	s_delay_alu instid0(VALU_DEP_2) | instskip(NEXT) | instid1(VALU_DEP_2)
	v_mul_lo_u16 v13, 0xcd, v19
	v_add3_u32 v22, 0, v21, v22
	s_delay_alu instid0(VALU_DEP_2) | instskip(NEXT) | instid1(VALU_DEP_1)
	v_lshrrev_b16 v24, 11, v13
	v_mul_lo_u16 v13, v24, 10
	v_and_b32_e32 v24, 0xffff, v24
	s_delay_alu instid0(VALU_DEP_2) | instskip(SKIP_1) | instid1(VALU_DEP_3)
	v_sub_nc_u16 v14, v16, v13
	v_add_nc_u32_e32 v13, 0xc0, v1
	v_mul_u32_u24_e32 v24, 0x78, v24
	s_delay_alu instid0(VALU_DEP_3) | instskip(NEXT) | instid1(VALU_DEP_3)
	v_and_b32_e32 v23, 0xff, v14
	v_and_b32_e32 v18, 0xffff, v13
	s_delay_alu instid0(VALU_DEP_2) | instskip(NEXT) | instid1(VALU_DEP_2)
	v_mul_u32_u24_e32 v14, 5, v23
	v_mul_u32_u24_e32 v15, 0xcccd, v18
	v_lshlrev_b32_e32 v23, 1, v23
	v_mul_u32_u24_e32 v18, 0x8889, v18
	s_delay_alu instid0(VALU_DEP_4) | instskip(NEXT) | instid1(VALU_DEP_4)
	v_lshlrev_b32_e32 v47, 2, v14
	v_lshrrev_b32_e32 v26, 19, v15
	v_add_nc_u32_e32 v15, 0x120, v1
	s_delay_alu instid0(VALU_DEP_4)
	v_lshrrev_b32_e32 v18, 21, v18
	global_load_b128 v[39:42], v47, s[8:9]
	v_mul_lo_u16 v14, v26, 10
	ds_load_u16 v50, v0 offset:3072
	ds_load_u16 v51, v0 offset:1152
	;; [unrolled: 1-line block ×17, first 2 shown]
	v_sub_nc_u16 v14, v13, v14
	global_load_b32 v86, v20, s[8:9] offset:16
	ds_load_u16 v88, v0 offset:3840
	ds_load_u16 v89, v0 offset:3648
	v_mul_u32_u24_e32 v21, 0x78, v26
	v_and_b32_e32 v27, 0xffff, v14
	v_and_b32_e32 v14, 0xffff, v15
	s_delay_alu instid0(VALU_DEP_2) | instskip(NEXT) | instid1(VALU_DEP_2)
	v_mul_u32_u24_e32 v43, 5, v27
	v_mul_u32_u24_e32 v28, 0xcccd, v14
	;; [unrolled: 1-line block ×3, first 2 shown]
	s_delay_alu instid0(VALU_DEP_3) | instskip(NEXT) | instid1(VALU_DEP_3)
	v_lshlrev_b32_e32 v87, 2, v43
	v_lshrrev_b32_e32 v28, 19, v28
	s_delay_alu instid0(VALU_DEP_3) | instskip(SKIP_2) | instid1(VALU_DEP_1)
	v_lshrrev_b32_e32 v14, 21, v14
	global_load_b128 v[43:46], v87, s[8:9]
	v_mul_lo_u16 v91, v28, 10
	v_sub_nc_u16 v91, v15, v91
	s_wait_loadcnt 0x3
	v_lshrrev_b32_e32 v20, 16, v35
	v_lshrrev_b32_e32 v90, 16, v36
	s_wait_dscnt 0xe
	s_delay_alu instid0(VALU_DEP_2) | instskip(SKIP_2) | instid1(VALU_DEP_3)
	v_mul_f16_e32 v92, v29, v20
	v_mul_f16_e32 v93, v53, v20
	v_lshrrev_b32_e32 v20, 16, v37
	v_fma_f16 v53, v53, v35, -v92
	s_wait_dscnt 0x7
	v_mul_f16_e32 v92, v68, v90
	v_fmac_f16_e32 v93, v29, v35
	v_mul_f16_e32 v90, v72, v90
	v_and_b32_e32 v29, 0xffff, v91
	v_mul_f16_e32 v35, v65, v20
	v_fma_f16 v72, v72, v36, -v92
	v_lshrrev_b32_e32 v91, 16, v38
	v_fmac_f16_e32 v90, v68, v36
	v_mul_u32_u24_e32 v36, 5, v29
	v_fma_f16 v68, v70, v37, -v35
	v_mul_f16_e32 v70, v70, v20
	s_wait_dscnt 0x1
	v_mul_f16_e32 v20, v88, v91
	v_mul_f16_e32 v91, v78, v91
	v_lshlrev_b32_e32 v92, 2, v36
	v_fmac_f16_e32 v70, v65, v37
	s_delay_alu instid0(VALU_DEP_4) | instskip(NEXT) | instid1(VALU_DEP_4)
	v_fma_f16 v65, v78, v38, -v20
	v_fmac_f16_e32 v91, v88, v38
	s_clause 0x1
	global_load_b128 v[35:38], v92, s[8:9]
	global_load_b32 v47, v47, s[8:9] offset:16
	s_wait_loadcnt 0x4
	v_lshrrev_b32_e32 v20, 16, v39
	s_delay_alu instid0(VALU_DEP_1) | instskip(SKIP_2) | instid1(VALU_DEP_3)
	v_mul_f16_e32 v78, v51, v20
	v_mul_f16_e32 v88, v33, v20
	v_lshrrev_b32_e32 v20, 16, v40
	v_fma_f16 v78, v33, v39, -v78
	s_delay_alu instid0(VALU_DEP_3) | instskip(NEXT) | instid1(VALU_DEP_3)
	v_fmac_f16_e32 v88, v51, v39
	v_mul_f16_e32 v33, v60, v20
	v_mul_f16_e32 v39, v54, v20
	v_lshrrev_b32_e32 v20, 16, v41
	s_delay_alu instid0(VALU_DEP_3) | instskip(NEXT) | instid1(VALU_DEP_3)
	v_fma_f16 v51, v54, v40, -v33
	v_fmac_f16_e32 v39, v60, v40
	s_delay_alu instid0(VALU_DEP_3)
	v_mul_f16_e32 v33, v50, v20
	v_mul_f16_e32 v40, v32, v20
	v_lshrrev_b32_e32 v20, 16, v42
	global_load_b32 v60, v87, s[8:9] offset:16
	v_fma_f16 v54, v32, v41, -v33
	v_fmac_f16_e32 v40, v50, v41
	v_mul_f16_e32 v32, v82, v20
	ds_load_u16 v33, v0 offset:3264
	v_mul_f16_e32 v50, v74, v20
	s_wait_loadcnt 0x3
	v_lshrrev_b32_e32 v20, 16, v43
	v_fma_f16 v41, v74, v42, -v32
	ds_load_u16 v74, v0 offset:3456
	v_fmac_f16_e32 v50, v82, v42
	v_mul_f16_e32 v32, v52, v20
	v_lshrrev_b32_e32 v42, 16, v44
	v_mul_f16_e32 v87, v48, v20
	v_lshrrev_b32_e32 v82, 16, v45
	s_delay_alu instid0(VALU_DEP_4) | instskip(NEXT) | instid1(VALU_DEP_4)
	v_fma_f16 v48, v48, v43, -v32
	v_mul_f16_e32 v20, v61, v42
	s_delay_alu instid0(VALU_DEP_4) | instskip(SKIP_2) | instid1(VALU_DEP_4)
	v_fmac_f16_e32 v87, v52, v43
	v_lshrrev_b32_e32 v43, 16, v46
	v_mul_f16_e32 v42, v56, v42
	v_fma_f16 v52, v56, v44, -v20
	v_mul_f16_e32 v56, v58, v82
	s_delay_alu instid0(VALU_DEP_4) | instskip(SKIP_2) | instid1(VALU_DEP_2)
	v_mul_f16_e32 v20, v83, v43
	v_mul_f16_e32 v43, v75, v43
	v_fmac_f16_e32 v42, v61, v44
	v_fmac_f16_e32 v43, v83, v46
	ds_load_u16 v83, v0 offset:4992
	s_wait_dscnt 0x2
	v_mul_f16_e32 v32, v33, v82
	v_fmac_f16_e32 v56, v33, v45
	s_delay_alu instid0(VALU_DEP_2)
	v_fma_f16 v44, v58, v45, -v32
	v_fma_f16 v45, v75, v46, -v20
	v_and_b32_e32 v20, 0xffff, v9
	global_load_b32 v58, v92, s[8:9] offset:16
	s_wait_loadcnt 0x3
	v_lshrrev_b32_e32 v32, 16, v35
	v_lshrrev_b32_e32 v33, 16, v36
	;; [unrolled: 1-line block ×4, first 2 shown]
	s_delay_alu instid0(VALU_DEP_4) | instskip(SKIP_3) | instid1(VALU_DEP_4)
	v_mul_f16_e32 v46, v55, v32
	v_mul_f16_e32 v61, v49, v32
	v_mul_u32_u24_e32 v32, 0xcccd, v20
	v_mul_u32_u24_e32 v20, 0x8889, v20
	v_fma_f16 v46, v49, v35, -v46
	s_delay_alu instid0(VALU_DEP_4)
	v_fmac_f16_e32 v61, v55, v35
	v_mul_f16_e32 v35, v64, v33
	v_lshrrev_b32_e32 v32, 19, v32
	v_mul_f16_e32 v49, v57, v33
	s_wait_dscnt 0x1
	v_mul_f16_e32 v33, v74, v75
	ds_load_u16 v55, v0 offset:4800
	v_fma_f16 v57, v57, v36, -v35
	v_mul_lo_u16 v35, v32, 10
	v_mul_f16_e32 v75, v59, v75
	v_fma_f16 v59, v59, v37, -v33
	v_mul_f16_e32 v33, v84, v82
	v_fmac_f16_e32 v49, v64, v36
	v_sub_nc_u16 v35, v9, v35
	v_mul_f16_e32 v64, v76, v82
	v_fmac_f16_e32 v75, v74, v37
	v_fma_f16 v76, v76, v38, -v33
	s_wait_loadcnt 0x2
	v_lshrrev_b32_e32 v36, 16, v47
	v_and_b32_e32 v33, 0xffff, v35
	v_lshrrev_b32_e32 v35, 16, v86
	v_fmac_f16_e32 v64, v84, v38
	ds_load_u16 v74, v0 offset:5184
	ds_load_u16 v82, v0 offset:5376
	;; [unrolled: 1-line block ×3, first 2 shown]
	v_mul_u32_u24_e32 v37, 5, v33
	v_mul_f16_e32 v92, v62, v35
	v_lshrrev_b32_e32 v20, 21, v20
	s_wait_dscnt 0x3
	v_mul_f16_e32 v38, v55, v35
	v_mul_f16_e32 v35, v83, v36
	v_lshlrev_b32_e32 v94, 2, v37
	v_fmac_f16_e32 v92, v55, v86
	s_delay_alu instid0(VALU_DEP_4) | instskip(NEXT) | instid1(VALU_DEP_4)
	v_fma_f16 v62, v62, v86, -v38
	v_fma_f16 v55, v63, v47, -v35
	v_mul_f16_e32 v63, v63, v36
	s_clause 0x1
	global_load_b128 v[35:38], v94, s[8:9]
	global_load_b32 v86, v94, s[8:9] offset:16
	v_fmac_f16_e32 v63, v83, v47
	s_wait_loadcnt 0x3
	v_lshrrev_b32_e32 v47, 16, v60
	s_wait_dscnt 0x2
	s_delay_alu instid0(VALU_DEP_1) | instskip(SKIP_1) | instid1(VALU_DEP_2)
	v_mul_f16_e32 v83, v74, v47
	v_mul_f16_e32 v47, v66, v47
	v_fma_f16 v83, v66, v60, -v83
	s_delay_alu instid0(VALU_DEP_2) | instskip(SKIP_3) | instid1(VALU_DEP_2)
	v_fmac_f16_e32 v47, v74, v60
	s_wait_loadcnt 0x1
	v_lshrrev_b32_e32 v66, 16, v35
	v_lshrrev_b32_e32 v74, 16, v36
	v_mul_f16_e32 v60, v80, v66
	v_mul_f16_e32 v66, v73, v66
	s_delay_alu instid0(VALU_DEP_2) | instskip(NEXT) | instid1(VALU_DEP_2)
	v_fma_f16 v60, v73, v35, -v60
	v_fmac_f16_e32 v66, v80, v35
	v_mul_f16_e32 v35, v67, v74
	v_mul_f16_e32 v73, v71, v74
	v_lshrrev_b32_e32 v74, 16, v37
	s_delay_alu instid0(VALU_DEP_3) | instskip(NEXT) | instid1(VALU_DEP_3)
	v_fma_f16 v71, v71, v36, -v35
	v_fmac_f16_e32 v73, v67, v36
	s_delay_alu instid0(VALU_DEP_3) | instskip(SKIP_2) | instid1(VALU_DEP_3)
	v_mul_f16_e32 v35, v89, v74
	v_lshrrev_b32_e32 v36, 16, v38
	v_mul_f16_e32 v67, v79, v74
	v_fma_f16 v74, v79, v37, -v35
	s_delay_alu instid0(VALU_DEP_3) | instskip(SKIP_1) | instid1(VALU_DEP_4)
	v_mul_f16_e32 v35, v85, v36
	v_mul_f16_e32 v79, v77, v36
	v_fmac_f16_e32 v67, v89, v37
	v_lshrrev_b32_e32 v37, 16, v58
	s_wait_loadcnt 0x0
	v_lshrrev_b32_e32 v36, 16, v86
	v_fma_f16 v77, v77, v38, -v35
	v_fmac_f16_e32 v79, v85, v38
	ds_load_u16 v38, v0
	ds_load_u16 v80, v0 offset:192
	ds_load_u16 v85, v0 offset:384
	s_wait_dscnt 0x4
	v_mul_f16_e32 v35, v82, v37
	v_mul_f16_e32 v37, v69, v37
	ds_load_u16 v89, v17
	global_wb scope:SCOPE_SE
	s_wait_dscnt 0x0
	s_barrier_signal -1
	v_fma_f16 v69, v69, v58, -v35
	v_add_f16_e32 v35, v72, v65
	v_fmac_f16_e32 v37, v82, v58
	v_mul_f16_e32 v58, v84, v36
	v_mul_f16_e32 v82, v81, v36
	v_add_f16_e32 v36, v34, v72
	v_fmac_f16_e32 v34, -0.5, v35
	v_sub_f16_e32 v35, v90, v91
	v_fma_f16 v58, v81, v86, -v58
	v_fmac_f16_e32 v82, v84, v86
	v_add_f16_e32 v81, v68, v62
	v_add_f16_e32 v86, v70, v92
	v_fmamk_f16 v84, v35, 0x3aee, v34
	v_fmac_f16_e32 v34, 0xbaee, v35
	v_add_f16_e32 v35, v53, v68
	v_fmac_f16_e32 v53, -0.5, v81
	v_add_f16_e32 v81, v93, v70
	v_fmac_f16_e32 v93, -0.5, v86
	v_add_f16_e32 v86, v90, v91
	v_add_f16_e32 v94, v36, v65
	v_add_f16_e32 v36, v38, v90
	v_sub_f16_e32 v70, v70, v92
	v_sub_f16_e32 v68, v68, v62
	v_fmac_f16_e32 v38, -0.5, v86
	v_sub_f16_e32 v65, v72, v65
	v_add_f16_e32 v72, v36, v91
	v_fmamk_f16 v36, v70, 0x3aee, v53
	v_fmamk_f16 v86, v68, 0xbaee, v93
	v_fmac_f16_e32 v53, 0xbaee, v70
	v_fmac_f16_e32 v93, 0x3aee, v68
	v_fmamk_f16 v70, v65, 0xbaee, v38
	v_fmac_f16_e32 v38, 0x3aee, v65
	v_mul_f16_e32 v65, 0x3aee, v86
	v_mul_f16_e32 v68, -0.5, v53
	v_add_f16_e32 v62, v35, v62
	v_add_f16_e32 v81, v81, v92
	v_mul_f16_e32 v92, -0.5, v93
	v_mul_f16_e32 v90, 0xbaee, v36
	v_fmac_f16_e32 v65, 0.5, v36
	v_fmac_f16_e32 v68, 0x3aee, v93
	v_add_f16_e32 v91, v94, v62
	v_fmac_f16_e32 v92, 0xbaee, v53
	v_sub_f16_e32 v53, v94, v62
	v_add_f16_e32 v62, v51, v41
	v_fmac_f16_e32 v90, 0.5, v86
	v_add_f16_e32 v86, v84, v65
	v_add_f16_e32 v93, v34, v68
	;; [unrolled: 1-line block ×3, first 2 shown]
	v_sub_f16_e32 v65, v84, v65
	v_add_f16_e32 v84, v38, v92
	v_sub_f16_e32 v34, v34, v68
	v_add_f16_e32 v68, v31, v51
	v_fmac_f16_e32 v31, -0.5, v62
	v_sub_f16_e32 v62, v39, v50
	v_sub_f16_e32 v72, v72, v81
	;; [unrolled: 1-line block ×3, first 2 shown]
	v_add_f16_e32 v81, v54, v55
	v_add_f16_e32 v92, v40, v63
	;; [unrolled: 1-line block ×3, first 2 shown]
	v_sub_f16_e32 v70, v70, v90
	v_fmamk_f16 v90, v62, 0x3aee, v31
	v_fmac_f16_e32 v31, 0xbaee, v62
	v_add_f16_e32 v62, v78, v54
	v_fmac_f16_e32 v78, -0.5, v81
	v_add_f16_e32 v81, v88, v40
	v_fmac_f16_e32 v88, -0.5, v92
	v_add_f16_e32 v92, v39, v50
	v_add_f16_e32 v39, v80, v39
	v_sub_f16_e32 v40, v40, v63
	v_sub_f16_e32 v54, v54, v55
	v_add_f16_e32 v68, v68, v41
	v_fmac_f16_e32 v80, -0.5, v92
	v_sub_f16_e32 v41, v51, v41
	v_add_f16_e32 v39, v39, v50
	v_fmamk_f16 v50, v40, 0x3aee, v78
	v_fmamk_f16 v51, v54, 0xbaee, v88
	v_fmac_f16_e32 v78, 0xbaee, v40
	v_fmac_f16_e32 v88, 0x3aee, v54
	v_fmamk_f16 v40, v41, 0xbaee, v80
	v_fmac_f16_e32 v80, 0x3aee, v41
	v_mul_f16_e32 v41, 0x3aee, v51
	v_mul_f16_e32 v54, -0.5, v78
	v_add_f16_e32 v55, v62, v55
	v_add_f16_e32 v62, v81, v63
	v_mul_f16_e32 v63, 0xbaee, v50
	v_mul_f16_e32 v81, -0.5, v88
	v_fmac_f16_e32 v41, 0.5, v50
	v_fmac_f16_e32 v54, 0x3aee, v88
	v_add_f16_e32 v50, v68, v55
	v_fmac_f16_e32 v63, 0.5, v51
	v_fmac_f16_e32 v81, 0xbaee, v78
	v_sub_f16_e32 v55, v68, v55
	v_add_f16_e32 v68, v52, v45
	v_add_f16_e32 v51, v90, v41
	;; [unrolled: 1-line block ×5, first 2 shown]
	v_sub_f16_e32 v41, v90, v41
	v_add_f16_e32 v90, v80, v81
	v_sub_f16_e32 v31, v31, v54
	v_add_f16_e32 v54, v25, v52
	v_fmac_f16_e32 v25, -0.5, v68
	v_sub_f16_e32 v68, v42, v43
	v_sub_f16_e32 v39, v39, v62
	v_sub_f16_e32 v40, v40, v63
	v_sub_f16_e32 v62, v80, v81
	v_add_f16_e32 v63, v44, v83
	v_add_f16_e32 v81, v56, v47
	v_fmamk_f16 v80, v68, 0x3aee, v25
	v_fmac_f16_e32 v25, 0xbaee, v68
	v_add_f16_e32 v68, v48, v44
	v_fmac_f16_e32 v48, -0.5, v63
	v_add_f16_e32 v63, v87, v56
	v_fmac_f16_e32 v87, -0.5, v81
	v_add_f16_e32 v81, v42, v43
	v_add_f16_e32 v42, v85, v42
	v_sub_f16_e32 v56, v56, v47
	v_sub_f16_e32 v44, v44, v83
	v_add_f16_e32 v54, v54, v45
	v_fmac_f16_e32 v85, -0.5, v81
	v_sub_f16_e32 v45, v52, v45
	v_add_f16_e32 v42, v42, v43
	v_fmamk_f16 v43, v56, 0x3aee, v48
	v_fmamk_f16 v52, v44, 0xbaee, v87
	v_fmac_f16_e32 v48, 0xbaee, v56
	v_fmac_f16_e32 v87, 0x3aee, v44
	v_fmamk_f16 v56, v45, 0xbaee, v85
	v_fmac_f16_e32 v85, 0x3aee, v45
	v_mul_f16_e32 v44, 0x3aee, v52
	v_mul_f16_e32 v45, -0.5, v48
	v_add_f16_e32 v68, v68, v83
	v_add_f16_e32 v47, v63, v47
	v_mul_f16_e32 v63, 0xbaee, v43
	v_mul_f16_e32 v81, -0.5, v87
	v_fmac_f16_e32 v44, 0.5, v43
	v_fmac_f16_e32 v45, 0x3aee, v87
	v_add_f16_e32 v43, v54, v68
	v_fmac_f16_e32 v63, 0.5, v52
	v_fmac_f16_e32 v81, 0xbaee, v48
	v_sub_f16_e32 v54, v54, v68
	v_add_f16_e32 v68, v57, v76
	v_add_f16_e32 v52, v80, v44
	;; [unrolled: 1-line block ×5, first 2 shown]
	v_sub_f16_e32 v44, v80, v44
	v_add_f16_e32 v80, v85, v81
	v_sub_f16_e32 v25, v25, v45
	v_add_f16_e32 v45, v11, v57
	v_fmac_f16_e32 v11, -0.5, v68
	v_sub_f16_e32 v68, v49, v64
	v_sub_f16_e32 v42, v42, v47
	;; [unrolled: 1-line block ×4, first 2 shown]
	v_add_f16_e32 v63, v59, v69
	v_add_f16_e32 v85, v75, v37
	v_fmamk_f16 v81, v68, 0x3aee, v11
	v_fmac_f16_e32 v11, 0xbaee, v68
	v_add_f16_e32 v68, v46, v59
	v_fmac_f16_e32 v46, -0.5, v63
	v_add_f16_e32 v63, v61, v75
	v_fmac_f16_e32 v61, -0.5, v85
	v_add_f16_e32 v85, v49, v64
	v_add_f16_e32 v49, v30, v49
	v_sub_f16_e32 v75, v75, v37
	v_sub_f16_e32 v59, v59, v69
	v_add_f16_e32 v45, v45, v76
	v_fmac_f16_e32 v30, -0.5, v85
	v_add_f16_e32 v49, v49, v64
	v_fmamk_f16 v64, v75, 0x3aee, v46
	v_fmac_f16_e32 v46, 0xbaee, v75
	v_sub_f16_e32 v57, v57, v76
	v_fmamk_f16 v76, v59, 0xbaee, v61
	v_fmac_f16_e32 v61, 0x3aee, v59
	v_add_f16_e32 v37, v63, v37
	v_mul_f16_e32 v59, -0.5, v46
	v_fmamk_f16 v75, v57, 0xbaee, v30
	v_fmac_f16_e32 v30, 0x3aee, v57
	v_mul_f16_e32 v57, 0x3aee, v76
	v_mul_f16_e32 v63, 0xbaee, v64
	v_fmac_f16_e32 v59, 0x3aee, v61
	v_mul_f16_e32 v61, -0.5, v61
	v_add_f16_e32 v68, v68, v69
	v_fmac_f16_e32 v57, 0.5, v64
	v_fmac_f16_e32 v63, 0.5, v76
	v_add_f16_e32 v76, v11, v59
	v_fmac_f16_e32 v61, 0xbaee, v46
	v_add_f16_e32 v85, v49, v37
	v_add_f16_e32 v69, v81, v57
	v_sub_f16_e32 v57, v81, v57
	v_add_f16_e32 v46, v75, v63
	v_add_f16_e32 v81, v30, v61
	v_sub_f16_e32 v30, v30, v61
	v_add_f16_e32 v61, v73, v79
	v_sub_f16_e32 v11, v11, v59
	v_sub_f16_e32 v37, v49, v37
	v_add_f16_e32 v49, v12, v71
	v_sub_f16_e32 v59, v73, v79
	v_sub_f16_e32 v63, v75, v63
	v_add_f16_e32 v73, v89, v73
	v_add_f16_e32 v75, v74, v58
	v_fmac_f16_e32 v89, -0.5, v61
	v_add_f16_e32 v61, v67, v82
	v_add_f16_e32 v64, v45, v68
	v_sub_f16_e32 v45, v45, v68
	v_add_f16_e32 v68, v71, v77
	v_add_f16_e32 v49, v49, v77
	v_sub_f16_e32 v71, v71, v77
	v_add_f16_e32 v77, v60, v74
	v_fmac_f16_e32 v60, -0.5, v75
	v_add_f16_e32 v75, v66, v67
	v_fmac_f16_e32 v66, -0.5, v61
	v_sub_f16_e32 v61, v74, v58
	v_fmac_f16_e32 v12, -0.5, v68
	v_sub_f16_e32 v67, v67, v82
	v_add_f16_e32 v58, v77, v58
	s_barrier_wait -1
	v_fmamk_f16 v74, v61, 0xbaee, v66
	v_fmamk_f16 v68, v59, 0x3aee, v12
	v_fmac_f16_e32 v12, 0xbaee, v59
	v_add_f16_e32 v59, v73, v79
	v_fmamk_f16 v73, v71, 0xbaee, v89
	v_fmamk_f16 v79, v67, 0x3aee, v60
	v_fmac_f16_e32 v60, 0xbaee, v67
	v_fmac_f16_e32 v89, 0x3aee, v71
	v_mul_f16_e32 v67, 0x3aee, v74
	v_add_f16_e32 v71, v75, v82
	v_mul_f16_e32 v75, 0xbaee, v79
	v_fmac_f16_e32 v66, 0x3aee, v61
	v_mul_f16_e32 v61, -0.5, v60
	v_fmac_f16_e32 v67, 0.5, v79
	v_add_f16_e32 v79, v59, v71
	v_sub_f16_e32 v59, v59, v71
	v_add3_u32 v71, 0, v24, v23
	v_lshlrev_b32_e32 v23, 1, v27
	v_mul_f16_e32 v77, -0.5, v66
	v_fmac_f16_e32 v61, 0x3aee, v66
	v_add_f16_e32 v66, v49, v58
	v_fmac_f16_e32 v75, 0.5, v74
	v_add3_u32 v26, 0, v21, v23
	v_mul_u32_u24_e32 v21, 0x78, v28
	v_lshlrev_b32_e32 v23, 1, v29
	v_add_f16_e32 v74, v68, v67
	v_fmac_f16_e32 v77, 0xbaee, v60
	v_add_f16_e32 v60, v12, v61
	v_sub_f16_e32 v49, v49, v58
	v_add3_u32 v27, 0, v21, v23
	v_mul_u32_u24_e32 v21, 0x78, v32
	v_lshlrev_b32_e32 v23, 1, v33
	v_sub_f16_e32 v67, v68, v67
	v_sub_f16_e32 v12, v12, v61
	global_inv scope:SCOPE_SE
	ds_store_b16 v22, v91
	ds_store_b16 v22, v86 offset:20
	ds_store_b16 v22, v93 offset:40
	ds_store_b16 v22, v53 offset:60
	ds_store_b16 v22, v65 offset:80
	ds_store_b16 v22, v34 offset:100
	ds_store_b16 v71, v50
	ds_store_b16 v71, v51 offset:20
	ds_store_b16 v71, v88 offset:40
	ds_store_b16 v71, v55 offset:60
	ds_store_b16 v71, v41 offset:80
	ds_store_b16 v71, v31 offset:100
	;; [unrolled: 6-line block ×3, first 2 shown]
	v_add3_u32 v29, 0, v21, v23
	ds_store_b16 v27, v64
	ds_store_b16 v27, v69 offset:20
	ds_store_b16 v27, v76 offset:40
	;; [unrolled: 1-line block ×5, first 2 shown]
	ds_store_b16 v29, v66
	ds_store_b16 v29, v74 offset:20
	ds_store_b16 v29, v60 offset:40
	;; [unrolled: 1-line block ×5, first 2 shown]
	v_subrev_nc_u32_e32 v11, 60, v1
	v_add_f16_e32 v82, v73, v75
	v_add_f16_e32 v58, v89, v77
	v_sub_f16_e32 v61, v73, v75
	v_sub_f16_e32 v68, v89, v77
	global_wb scope:SCOPE_SE
	s_wait_dscnt 0x0
	s_barrier_signal -1
	s_barrier_wait -1
	global_inv scope:SCOPE_SE
	ds_load_u16 v41, v0 offset:3072
	ds_load_u16 v28, v0
	ds_load_u16 v25, v0 offset:192
	ds_load_u16 v24, v0 offset:384
	;; [unrolled: 1-line block ×26, first 2 shown]
	ds_load_u16 v21, v17
	ds_load_u16 v86, v0 offset:5568
	global_wb scope:SCOPE_SE
	s_wait_dscnt 0x0
	s_barrier_signal -1
	s_barrier_wait -1
	global_inv scope:SCOPE_SE
	ds_store_b16 v22, v35
	ds_store_b16 v22, v36 offset:20
	ds_store_b16 v22, v84 offset:40
	;; [unrolled: 1-line block ×5, first 2 shown]
	s_wait_alu 0xf1ff
	v_cndmask_b32_e64 v22, v11, v1, s0
	v_mov_b32_e32 v12, 0
	ds_store_b16 v71, v92
	ds_store_b16 v71, v78 offset:20
	ds_store_b16 v71, v90 offset:40
	ds_store_b16 v71, v39 offset:60
	ds_store_b16 v71, v40 offset:80
	ds_store_b16 v71, v62 offset:100
	ds_store_b16 v26, v87
	ds_store_b16 v26, v48 offset:20
	ds_store_b16 v26, v80 offset:40
	ds_store_b16 v26, v42 offset:60
	ds_store_b16 v26, v47 offset:80
	ds_store_b16 v26, v56 offset:100
	;; [unrolled: 6-line block ×3, first 2 shown]
	v_mul_i32_i24_e32 v11, 5, v22
	ds_store_b16 v29, v79
	ds_store_b16 v29, v82 offset:20
	ds_store_b16 v29, v58 offset:40
	;; [unrolled: 1-line block ×5, first 2 shown]
	global_wb scope:SCOPE_SE
	s_wait_dscnt 0x0
	s_barrier_signal -1
	s_barrier_wait -1
	v_lshlrev_b64_e32 v[26:27], 2, v[11:12]
	v_mul_lo_u16 v11, 0x89, v19
	global_inv scope:SCOPE_SE
	v_mul_lo_u16 v37, v18, 60
	v_lshlrev_b32_e32 v22, 1, v22
	v_lshrrev_b16 v11, 13, v11
	v_add_co_u32 v26, s0, s8, v26
	s_wait_alu 0xf1ff
	v_add_co_ci_u32_e64 v27, s0, s9, v27, s0
	s_delay_alu instid0(VALU_DEP_3)
	v_mul_lo_u16 v19, v11, 60
	v_sub_nc_u16 v13, v13, v37
	v_and_b32_e32 v11, 0xffff, v11
	global_load_b128 v[29:32], v[26:27], off offset:200
	v_cmp_lt_u32_e64 s0, 59, v1
	v_sub_nc_u16 v16, v16, v19
	v_and_b32_e32 v13, 0xffff, v13
	v_mul_u32_u24_e32 v11, 0x2d0, v11
	s_delay_alu instid0(VALU_DEP_3) | instskip(NEXT) | instid1(VALU_DEP_3)
	v_and_b32_e32 v16, 0xff, v16
	v_mul_u32_u24_e32 v37, 5, v13
	v_lshlrev_b32_e32 v13, 1, v13
	s_delay_alu instid0(VALU_DEP_3) | instskip(NEXT) | instid1(VALU_DEP_3)
	v_mul_u32_u24_e32 v19, 5, v16
	v_lshlrev_b32_e32 v42, 2, v37
	v_lshlrev_b32_e32 v16, 1, v16
	s_delay_alu instid0(VALU_DEP_3) | instskip(NEXT) | instid1(VALU_DEP_2)
	v_lshlrev_b32_e32 v19, 2, v19
	v_add3_u32 v11, 0, v11, v16
	v_mul_u32_u24_e32 v16, 0x2d0, v18
	s_clause 0x2
	global_load_b128 v[33:36], v19, s[8:9] offset:200
	global_load_b128 v[37:40], v42, s[8:9] offset:200
	global_load_b32 v46, v[26:27], off offset:216
	ds_load_u16 v27, v0 offset:2880
	ds_load_u16 v47, v0 offset:3072
	;; [unrolled: 1-line block ×22, first 2 shown]
	v_add3_u32 v13, 0, v16, v13
	global_load_b32 v42, v42, s[8:9] offset:216
	s_wait_loadcnt 0x4
	v_lshrrev_b32_e32 v79, 16, v29
	v_lshrrev_b32_e32 v89, 16, v30
	;; [unrolled: 1-line block ×4, first 2 shown]
	s_wait_dscnt 0x13
	v_mul_f16_e32 v88, v48, v79
	v_mul_f16_e32 v79, v49, v79
	s_delay_alu instid0(VALU_DEP_2) | instskip(SKIP_2) | instid1(VALU_DEP_3)
	v_fma_f16 v49, v49, v29, -v88
	s_wait_dscnt 0xe
	v_mul_f16_e32 v88, v61, v89
	v_fmac_f16_e32 v79, v48, v29
	v_mul_f16_e32 v48, v67, v89
	v_mul_f16_e32 v89, v65, v90
	;; [unrolled: 1-line block ×3, first 2 shown]
	v_fma_f16 v67, v67, v30, -v88
	global_load_b32 v88, v19, s[8:9] offset:216
	v_fmac_f16_e32 v48, v61, v30
	v_fmac_f16_e32 v89, v27, v31
	s_wait_dscnt 0x6
	v_mul_f16_e32 v27, v80, v91
	v_fma_f16 v61, v65, v31, -v29
	v_mul_f16_e32 v65, v77, v91
	s_wait_loadcnt 0x4
	v_lshrrev_b32_e32 v19, 16, v33
	v_lshrrev_b32_e32 v29, 16, v34
	v_fma_f16 v77, v77, v32, -v27
	v_mul_lo_u16 v27, v14, 60
	v_fmac_f16_e32 v65, v80, v32
	v_mul_f16_e32 v30, v56, v19
	v_mul_f16_e32 v80, v43, v19
	v_lshrrev_b32_e32 v31, 16, v36
	v_sub_nc_u16 v19, v15, v27
	v_lshrrev_b32_e32 v27, 16, v35
	v_fma_f16 v43, v43, v33, -v30
	v_fmac_f16_e32 v80, v56, v33
	v_mul_f16_e32 v30, v62, v29
	v_and_b32_e32 v19, 0xffff, v19
	v_mul_f16_e32 v56, v50, v29
	v_mul_f16_e32 v29, v47, v27
	;; [unrolled: 1-line block ×3, first 2 shown]
	v_fma_f16 v50, v50, v34, -v30
	v_mul_u32_u24_e32 v27, 5, v19
	v_fmac_f16_e32 v56, v62, v34
	s_wait_loadcnt 0x3
	v_lshrrev_b32_e32 v34, 16, v37
	v_fma_f16 v41, v41, v35, -v29
	v_fmac_f16_e32 v90, v47, v35
	v_lshlrev_b32_e32 v33, 2, v27
	s_wait_dscnt 0x5
	v_mul_f16_e32 v27, v81, v31
	v_mul_f16_e32 v47, v73, v31
	v_lshrrev_b32_e32 v35, 16, v38
	v_mul_u32_u24_e32 v14, 0x2d0, v14
	global_load_b128 v[29:32], v33, s[8:9] offset:200
	v_fma_f16 v62, v73, v36, -v27
	v_mul_f16_e32 v27, v58, v34
	v_fmac_f16_e32 v47, v81, v36
	v_lshrrev_b32_e32 v36, 16, v39
	v_lshrrev_b32_e32 v73, 16, v40
	v_mul_f16_e32 v91, v51, v35
	v_fma_f16 v81, v44, v37, -v27
	v_mul_f16_e32 v44, v44, v34
	v_mul_f16_e32 v27, v63, v35
	v_mul_lo_u16 v34, v20, 60
	v_fmac_f16_e32 v91, v63, v38
	v_mul_f16_e32 v63, v53, v36
	v_fmac_f16_e32 v44, v58, v37
	v_fma_f16 v37, v51, v38, -v27
	v_mul_f16_e32 v27, v70, v36
	v_sub_nc_u16 v34, v9, v34
	s_wait_dscnt 0x4
	v_mul_f16_e32 v35, v82, v73
	v_fmac_f16_e32 v63, v70, v39
	ds_load_u16 v38, v0 offset:4992
	ds_load_u16 v51, v0 offset:5184
	;; [unrolled: 1-line block ×3, first 2 shown]
	v_fma_f16 v53, v53, v39, -v27
	v_and_b32_e32 v27, 0xffff, v34
	s_wait_loadcnt 0x3
	v_lshrrev_b32_e32 v34, 16, v46
	v_fma_f16 v39, v74, v40, -v35
	global_load_b32 v70, v33, s[8:9] offset:216
	v_mul_f16_e32 v73, v74, v73
	v_mul_u32_u24_e32 v35, 5, v27
	s_wait_dscnt 0x3
	v_mul_f16_e32 v36, v92, v34
	v_lshlrev_b32_e32 v16, 1, v19
	v_lshlrev_b32_e32 v18, 1, v27
	v_fmac_f16_e32 v73, v82, v40
	v_lshlrev_b32_e32 v74, 2, v35
	ds_load_u16 v40, v0 offset:5568
	v_fma_f16 v82, v55, v46, -v36
	v_mul_f16_e32 v55, v55, v34
	s_clause 0x1
	global_load_b128 v[33:36], v74, s[8:9] offset:200
	global_load_b32 v74, v74, s[8:9] offset:216
	v_add3_u32 v14, 0, v14, v16
	v_mul_u32_u24_e32 v16, 0x2d0, v20
	v_fmac_f16_e32 v55, v92, v46
	v_lshl_add_u32 v19, v8, 1, 0
	v_lshl_add_u32 v20, v7, 1, 0
	v_lshlrev_b64_e32 v[9:10], 2, v[9:10]
	v_add3_u32 v16, 0, v16, v18
	v_lshl_add_u32 v18, v1, 1, 0
	s_wait_loadcnt 0x4
	v_lshrrev_b32_e32 v46, 16, v88
	s_wait_dscnt 0x3
	s_delay_alu instid0(VALU_DEP_1) | instskip(SKIP_1) | instid1(VALU_DEP_2)
	v_mul_f16_e32 v92, v38, v46
	v_mul_f16_e32 v46, v57, v46
	v_fma_f16 v92, v57, v88, -v92
	s_delay_alu instid0(VALU_DEP_2) | instskip(SKIP_3) | instid1(VALU_DEP_2)
	v_fmac_f16_e32 v46, v38, v88
	s_wait_loadcnt 0x3
	v_lshrrev_b32_e32 v57, 16, v29
	v_lshrrev_b32_e32 v88, 16, v30
	v_mul_f16_e32 v38, v59, v57
	v_mul_f16_e32 v57, v45, v57
	s_delay_alu instid0(VALU_DEP_2) | instskip(NEXT) | instid1(VALU_DEP_2)
	v_fma_f16 v38, v45, v29, -v38
	v_fmac_f16_e32 v57, v59, v29
	v_mul_f16_e32 v29, v68, v88
	v_mul_f16_e32 v45, v52, v88
	v_lshrrev_b32_e32 v59, 16, v31
	s_delay_alu instid0(VALU_DEP_3) | instskip(NEXT) | instid1(VALU_DEP_3)
	v_fma_f16 v52, v52, v30, -v29
	v_fmac_f16_e32 v45, v68, v30
	s_delay_alu instid0(VALU_DEP_3) | instskip(SKIP_2) | instid1(VALU_DEP_3)
	v_mul_f16_e32 v29, v71, v59
	v_mul_f16_e32 v59, v54, v59
	v_lshrrev_b32_e32 v30, 16, v32
	v_fma_f16 v54, v54, v31, -v29
	s_delay_alu instid0(VALU_DEP_3) | instskip(NEXT) | instid1(VALU_DEP_3)
	v_fmac_f16_e32 v59, v71, v31
	v_mul_f16_e32 v29, v84, v30
	v_lshrrev_b32_e32 v31, 16, v42
	v_mul_f16_e32 v68, v75, v30
	s_wait_loadcnt 0x2
	v_lshrrev_b32_e32 v30, 16, v70
	v_fma_f16 v71, v75, v32, -v29
	s_wait_dscnt 0x2
	v_mul_f16_e32 v29, v51, v31
	v_mul_f16_e32 v75, v60, v31
	v_fmac_f16_e32 v68, v84, v32
	s_wait_loadcnt 0x1
	v_lshrrev_b32_e32 v31, 16, v33
	ds_load_u16 v32, v0
	ds_load_u16 v84, v0 offset:192
	ds_load_u16 v88, v0 offset:384
	v_fma_f16 v60, v60, v42, -v29
	s_wait_dscnt 0x4
	v_mul_f16_e32 v29, v58, v30
	v_fmac_f16_e32 v75, v51, v42
	v_mul_f16_e32 v42, v64, v30
	v_lshrrev_b32_e32 v30, 16, v34
	ds_load_u16 v51, v17
	v_fma_f16 v64, v64, v70, -v29
	v_mul_f16_e32 v29, v78, v31
	v_fmac_f16_e32 v42, v58, v70
	v_lshrrev_b32_e32 v58, 16, v35
	v_mul_f16_e32 v70, v69, v31
	v_mul_f16_e32 v93, v66, v30
	v_fma_f16 v69, v69, v33, -v29
	v_mul_f16_e32 v29, v72, v30
	v_lshrrev_b32_e32 v30, 16, v36
	v_fmac_f16_e32 v70, v78, v33
	v_mul_f16_e32 v31, v87, v58
	v_fmac_f16_e32 v93, v72, v34
	v_fma_f16 v33, v66, v34, -v29
	v_mul_f16_e32 v29, v85, v30
	v_mul_f16_e32 v66, v76, v30
	s_wait_loadcnt 0x0
	v_lshrrev_b32_e32 v30, 16, v74
	v_mul_f16_e32 v34, v83, v58
	v_fma_f16 v58, v83, v35, -v31
	global_wb scope:SCOPE_SE
	s_wait_dscnt 0x0
	v_fmac_f16_e32 v66, v85, v36
	v_mul_f16_e32 v31, v40, v30
	v_fmac_f16_e32 v34, v87, v35
	v_fma_f16 v35, v76, v36, -v29
	v_add_f16_e32 v29, v67, v77
	v_mul_f16_e32 v36, v86, v30
	v_add_f16_e32 v30, v28, v67
	v_fma_f16 v72, v86, v74, -v31
	v_add_f16_e32 v31, v48, v65
	v_fmac_f16_e32 v28, -0.5, v29
	v_sub_f16_e32 v29, v48, v65
	v_fmac_f16_e32 v36, v40, v74
	v_add_f16_e32 v40, v30, v77
	v_add_f16_e32 v30, v32, v48
	;; [unrolled: 1-line block ×3, first 2 shown]
	v_fmac_f16_e32 v32, -0.5, v31
	v_sub_f16_e32 v31, v67, v77
	v_add_f16_e32 v67, v89, v55
	v_add_f16_e32 v76, v49, v61
	v_fmac_f16_e32 v49, -0.5, v48
	v_sub_f16_e32 v48, v89, v55
	v_add_f16_e32 v77, v79, v89
	v_fmac_f16_e32 v79, -0.5, v67
	v_sub_f16_e32 v61, v61, v82
	v_fmamk_f16 v74, v29, 0x3aee, v28
	v_fmac_f16_e32 v28, 0xbaee, v29
	v_add_f16_e32 v65, v30, v65
	v_fmamk_f16 v29, v48, 0x3aee, v49
	v_fmamk_f16 v30, v61, 0xbaee, v79
	v_fmac_f16_e32 v49, 0xbaee, v48
	v_add_f16_e32 v48, v76, v82
	v_fmac_f16_e32 v79, 0x3aee, v61
	v_add_f16_e32 v55, v77, v55
	v_mul_f16_e32 v61, 0x3aee, v30
	v_mul_f16_e32 v76, -0.5, v49
	v_mul_f16_e32 v77, 0xbaee, v29
	v_mul_f16_e32 v78, -0.5, v79
	v_fmamk_f16 v67, v31, 0xbaee, v32
	v_fmac_f16_e32 v61, 0.5, v29
	v_fmac_f16_e32 v76, 0x3aee, v79
	v_fmac_f16_e32 v77, 0.5, v30
	v_fmac_f16_e32 v78, 0xbaee, v49
	v_add_f16_e32 v29, v65, v55
	v_add_f16_e32 v49, v74, v61
	;; [unrolled: 1-line block ×3, first 2 shown]
	v_sub_f16_e32 v61, v74, v61
	v_sub_f16_e32 v74, v28, v76
	;; [unrolled: 1-line block ×3, first 2 shown]
	v_add_f16_e32 v55, v25, v50
	v_fmac_f16_e32 v32, 0x3aee, v31
	v_add_f16_e32 v79, v40, v48
	v_add_f16_e32 v30, v67, v77
	v_sub_f16_e32 v40, v40, v48
	v_add_f16_e32 v48, v50, v62
	v_sub_f16_e32 v65, v67, v77
	v_add_f16_e32 v67, v56, v47
	v_add_f16_e32 v55, v55, v62
	;; [unrolled: 1-line block ×3, first 2 shown]
	v_sub_f16_e32 v50, v50, v62
	v_add_f16_e32 v62, v90, v46
	v_add_f16_e32 v31, v32, v78
	v_fmac_f16_e32 v25, -0.5, v48
	v_sub_f16_e32 v48, v56, v47
	v_sub_f16_e32 v32, v32, v78
	v_add_f16_e32 v56, v84, v56
	v_fmac_f16_e32 v84, -0.5, v67
	v_add_f16_e32 v67, v43, v41
	v_fmac_f16_e32 v43, -0.5, v77
	v_sub_f16_e32 v77, v90, v46
	v_add_f16_e32 v78, v80, v90
	v_fmac_f16_e32 v80, -0.5, v62
	v_sub_f16_e32 v41, v41, v92
	v_add_f16_e32 v47, v56, v47
	v_fmamk_f16 v56, v77, 0x3aee, v43
	v_fmac_f16_e32 v43, 0xbaee, v77
	v_fmamk_f16 v76, v48, 0x3aee, v25
	v_fmamk_f16 v62, v41, 0xbaee, v80
	v_fmac_f16_e32 v80, 0x3aee, v41
	v_fmac_f16_e32 v25, 0xbaee, v48
	v_fmamk_f16 v48, v50, 0xbaee, v84
	v_fmac_f16_e32 v84, 0x3aee, v50
	v_add_f16_e32 v50, v67, v92
	v_mul_f16_e32 v41, 0x3aee, v62
	v_mul_f16_e32 v67, -0.5, v43
	v_add_f16_e32 v46, v78, v46
	v_mul_f16_e32 v78, -0.5, v80
	v_mul_f16_e32 v77, 0xbaee, v56
	v_fmac_f16_e32 v41, 0.5, v56
	v_fmac_f16_e32 v67, 0x3aee, v80
	v_add_f16_e32 v80, v47, v46
	v_fmac_f16_e32 v78, 0xbaee, v43
	v_fmac_f16_e32 v77, 0.5, v62
	v_add_f16_e32 v43, v76, v41
	v_add_f16_e32 v62, v25, v67
	v_sub_f16_e32 v41, v76, v41
	v_add_f16_e32 v85, v84, v78
	v_sub_f16_e32 v25, v25, v67
	v_sub_f16_e32 v46, v47, v46
	v_add_f16_e32 v47, v24, v37
	v_sub_f16_e32 v67, v84, v78
	v_add_f16_e32 v76, v91, v73
	v_add_f16_e32 v84, v53, v60
	;; [unrolled: 1-line block ×3, first 2 shown]
	v_sub_f16_e32 v50, v55, v50
	v_add_f16_e32 v55, v37, v39
	v_add_f16_e32 v47, v47, v39
	;; [unrolled: 1-line block ×3, first 2 shown]
	v_fmac_f16_e32 v88, -0.5, v76
	v_sub_f16_e32 v37, v37, v39
	v_add_f16_e32 v39, v63, v75
	v_add_f16_e32 v76, v81, v53
	v_fmac_f16_e32 v81, -0.5, v84
	v_sub_f16_e32 v84, v63, v75
	v_fmac_f16_e32 v24, -0.5, v55
	v_sub_f16_e32 v55, v91, v73
	v_add_f16_e32 v63, v44, v63
	v_fmac_f16_e32 v44, -0.5, v39
	v_sub_f16_e32 v39, v53, v60
	v_add_f16_e32 v53, v78, v73
	v_fmamk_f16 v73, v84, 0x3aee, v81
	v_fmac_f16_e32 v81, 0xbaee, v84
	v_add_f16_e32 v83, v48, v77
	v_sub_f16_e32 v48, v48, v77
	v_fmamk_f16 v77, v55, 0x3aee, v24
	v_fmac_f16_e32 v24, 0xbaee, v55
	v_fmamk_f16 v55, v37, 0xbaee, v88
	v_fmamk_f16 v78, v39, 0xbaee, v44
	v_fmac_f16_e32 v88, 0x3aee, v37
	v_add_f16_e32 v37, v76, v60
	v_fmac_f16_e32 v44, 0x3aee, v39
	v_mul_f16_e32 v60, -0.5, v81
	v_mul_f16_e32 v39, 0x3aee, v78
	v_add_f16_e32 v63, v63, v75
	v_mul_f16_e32 v75, 0xbaee, v73
	v_mul_f16_e32 v76, -0.5, v44
	v_fmac_f16_e32 v60, 0x3aee, v44
	v_fmac_f16_e32 v39, 0.5, v73
	v_add_f16_e32 v44, v47, v37
	v_fmac_f16_e32 v75, 0.5, v78
	v_sub_f16_e32 v37, v47, v37
	v_add_f16_e32 v78, v24, v60
	v_sub_f16_e32 v24, v24, v60
	v_add_f16_e32 v60, v23, v52
	v_add_f16_e32 v73, v77, v39
	;; [unrolled: 1-line block ×4, first 2 shown]
	v_sub_f16_e32 v39, v77, v39
	v_sub_f16_e32 v55, v55, v75
	v_add_f16_e32 v75, v45, v68
	v_add_f16_e32 v60, v60, v71
	;; [unrolled: 1-line block ×3, first 2 shown]
	v_sub_f16_e32 v52, v52, v71
	v_add_f16_e32 v71, v59, v42
	v_fmac_f16_e32 v23, -0.5, v47
	v_sub_f16_e32 v47, v45, v68
	v_add_f16_e32 v45, v26, v45
	v_fmac_f16_e32 v26, -0.5, v75
	v_add_f16_e32 v75, v38, v54
	v_fmac_f16_e32 v38, -0.5, v77
	v_sub_f16_e32 v77, v59, v42
	v_add_f16_e32 v59, v57, v59
	v_fmac_f16_e32 v57, -0.5, v71
	v_sub_f16_e32 v54, v54, v64
	v_add_f16_e32 v45, v45, v68
	v_fmamk_f16 v68, v77, 0x3aee, v38
	v_fmac_f16_e32 v76, 0xbaee, v81
	v_fmac_f16_e32 v38, 0xbaee, v77
	v_fmamk_f16 v71, v54, 0xbaee, v57
	v_fmac_f16_e32 v57, 0x3aee, v54
	v_add_f16_e32 v42, v59, v42
	v_mul_f16_e32 v59, 0xbaee, v68
	v_add_f16_e32 v81, v53, v63
	v_mul_f16_e32 v54, 0x3aee, v71
	v_add_f16_e32 v86, v88, v76
	v_sub_f16_e32 v53, v53, v63
	v_sub_f16_e32 v63, v88, v76
	v_fmamk_f16 v76, v47, 0x3aee, v23
	v_fmac_f16_e32 v23, 0xbaee, v47
	v_fmamk_f16 v47, v52, 0xbaee, v26
	v_fmac_f16_e32 v26, 0x3aee, v52
	v_add_f16_e32 v52, v75, v64
	v_mul_f16_e32 v64, -0.5, v38
	v_mul_f16_e32 v75, -0.5, v57
	v_fmac_f16_e32 v54, 0.5, v68
	v_fmac_f16_e32 v59, 0.5, v71
	v_add_f16_e32 v71, v45, v42
	v_sub_f16_e32 v42, v45, v42
	v_add_f16_e32 v45, v21, v33
	v_fmac_f16_e32 v64, 0x3aee, v57
	v_add_f16_e32 v57, v60, v52
	v_fmac_f16_e32 v75, 0xbaee, v38
	v_add_f16_e32 v38, v76, v54
	v_add_f16_e32 v77, v47, v59
	v_sub_f16_e32 v52, v60, v52
	v_add_f16_e32 v60, v33, v35
	v_sub_f16_e32 v54, v76, v54
	v_sub_f16_e32 v47, v47, v59
	v_add_f16_e32 v59, v93, v66
	v_add_f16_e32 v45, v45, v35
	;; [unrolled: 1-line block ×3, first 2 shown]
	v_sub_f16_e32 v33, v33, v35
	v_add_f16_e32 v35, v34, v36
	v_add_f16_e32 v87, v26, v75
	v_sub_f16_e32 v26, v26, v75
	v_add_f16_e32 v75, v51, v93
	v_fmac_f16_e32 v51, -0.5, v59
	v_add_f16_e32 v59, v69, v58
	v_fmac_f16_e32 v69, -0.5, v76
	v_sub_f16_e32 v76, v34, v36
	v_add_f16_e32 v34, v70, v34
	v_fmac_f16_e32 v70, -0.5, v35
	v_sub_f16_e32 v35, v58, v72
	v_fmac_f16_e32 v21, -0.5, v60
	v_sub_f16_e32 v60, v93, v66
	v_add_f16_e32 v58, v75, v66
	v_add_f16_e32 v68, v23, v64
	v_fmamk_f16 v75, v35, 0xbaee, v70
	v_fmac_f16_e32 v70, 0x3aee, v35
	v_sub_f16_e32 v23, v23, v64
	v_fmamk_f16 v64, v60, 0x3aee, v21
	v_fmac_f16_e32 v21, 0xbaee, v60
	v_fmamk_f16 v60, v33, 0xbaee, v51
	v_fmamk_f16 v66, v76, 0x3aee, v69
	v_fmac_f16_e32 v69, 0xbaee, v76
	v_fmac_f16_e32 v51, 0x3aee, v33
	v_add_f16_e32 v33, v59, v72
	v_mul_f16_e32 v72, -0.5, v70
	v_mul_f16_e32 v35, 0x3aee, v75
	v_mul_f16_e32 v59, -0.5, v69
	v_add_f16_e32 v34, v34, v36
	v_mul_f16_e32 v36, 0xbaee, v66
	v_fmac_f16_e32 v72, 0xbaee, v69
	v_fmac_f16_e32 v35, 0.5, v66
	v_add_f16_e32 v66, v45, v33
	v_sub_f16_e32 v33, v45, v33
	v_fmac_f16_e32 v59, 0x3aee, v70
	v_add_f16_e32 v88, v51, v72
	v_sub_f16_e32 v45, v51, v72
	s_wait_alu 0xf1ff
	v_cndmask_b32_e64 v51, 0, 0x2d0, s0
	v_fmac_f16_e32 v36, 0.5, v75
	v_add_f16_e32 v70, v21, v59
	v_sub_f16_e32 v21, v21, v59
	v_add_f16_e32 v69, v64, v35
	v_add3_u32 v22, 0, v51, v22
	v_sub_f16_e32 v35, v64, v35
	s_barrier_signal -1
	s_barrier_wait -1
	global_inv scope:SCOPE_SE
	ds_store_b16 v22, v79
	ds_store_b16 v22, v49 offset:120
	ds_store_b16 v22, v82 offset:240
	ds_store_b16 v22, v40 offset:360
	ds_store_b16 v22, v61 offset:480
	ds_store_b16 v22, v74 offset:600
	ds_store_b16 v11, v56
	ds_store_b16 v11, v43 offset:120
	ds_store_b16 v11, v62 offset:240
	ds_store_b16 v11, v50 offset:360
	ds_store_b16 v11, v41 offset:480
	ds_store_b16 v11, v25 offset:600
	;; [unrolled: 6-line block ×5, first 2 shown]
	v_add_nc_u32_e32 v21, 0x2a0, v1
	v_add_f16_e32 v75, v58, v34
	v_add_f16_e32 v76, v60, v36
	v_sub_f16_e32 v34, v58, v34
	v_sub_f16_e32 v36, v60, v36
	global_wb scope:SCOPE_SE
	s_wait_dscnt 0x0
	s_barrier_signal -1
	s_barrier_wait -1
	global_inv scope:SCOPE_SE
	ds_load_u16 v23, v0 offset:3072
	ds_load_u16 v24, v0
	ds_load_u16 v25, v0 offset:192
	ds_load_u16 v27, v0 offset:384
	;; [unrolled: 1-line block ×16, first 2 shown]
	ds_load_u16 v56, v20
	ds_load_u16 v57, v18 offset:1728
	ds_load_u16 v58, v18 offset:2112
	;; [unrolled: 1-line block ×7, first 2 shown]
	ds_load_u16 v66, v19
	ds_load_u16 v68, v18 offset:2688
	ds_load_u16 v69, v17
	ds_load_u16 v70, v0 offset:5568
	global_wb scope:SCOPE_SE
	s_wait_dscnt 0x0
	s_barrier_signal -1
	s_barrier_wait -1
	global_inv scope:SCOPE_SE
	ds_store_b16 v22, v29
	ds_store_b16 v22, v30 offset:120
	ds_store_b16 v22, v31 offset:240
	ds_store_b16 v22, v28 offset:360
	ds_store_b16 v22, v65 offset:480
	ds_store_b16 v22, v32 offset:600
	ds_store_b16 v11, v80
	ds_store_b16 v11, v83 offset:120
	ds_store_b16 v11, v85 offset:240
	ds_store_b16 v11, v46 offset:360
	ds_store_b16 v11, v48 offset:480
	ds_store_b16 v11, v67 offset:600
	;; [unrolled: 6-line block ×4, first 2 shown]
	v_lshlrev_b64_e32 v[13:14], 2, v[1:2]
	v_and_b32_e32 v2, 0xffff, v21
	v_add_nc_u32_e32 v30, 0x360, v1
	ds_store_b16 v16, v75
	ds_store_b16 v16, v76 offset:120
	ds_store_b16 v16, v88 offset:240
	;; [unrolled: 1-line block ×5, first 2 shown]
	v_and_b32_e32 v29, 0xffff, v8
	v_add_nc_u32_e32 v36, 0x3c0, v1
	v_mul_u32_u24_e32 v2, 0x2d83, v2
	v_and_b32_e32 v34, 0xffff, v30
	v_add_co_u32 v13, s0, s8, v13
	s_wait_alu 0xf1ff
	v_add_co_ci_u32_e64 v14, s0, s9, v14, s0
	v_lshrrev_b32_e32 v2, 22, v2
	v_mul_u32_u24_e32 v29, 0x2d83, v29
	v_mul_u32_u24_e32 v34, 0x2d83, v34
	v_add_nc_u32_e32 v16, 0xffffffb8, v1
	v_cmp_gt_u32_e64 s0, 0x48, v1
	v_mul_lo_u16 v11, 0x168, v2
	global_wb scope:SCOPE_SE
	s_wait_dscnt 0x0
	s_barrier_signal -1
	s_barrier_wait -1
	global_inv scope:SCOPE_SE
	s_clause 0x2
	global_load_b32 v22, v[13:14], off offset:1400
	global_load_b32 v28, v[13:14], off offset:1784
	;; [unrolled: 1-line block ×3, first 2 shown]
	v_lshrrev_b32_e32 v29, 22, v29
	v_lshrrev_b32_e32 v34, 22, v34
	v_and_b32_e32 v45, 0xffff, v36
	v_sub_nc_u16 v26, v21, v11
	s_wait_alu 0xf1ff
	v_cndmask_b32_e64 v11, v16, v15, s0
	v_mul_lo_u16 v29, 0x168, v29
	v_add_nc_u32_e32 v47, 0x420, v1
	v_mul_lo_u16 v34, 0x168, v34
	v_mul_u32_u24_e32 v45, 0x2d83, v45
	v_lshlrev_b64_e32 v[15:16], 2, v[11:12]
	v_sub_nc_u16 v29, v8, v29
	v_and_b32_e32 v26, 0xffff, v26
	v_sub_nc_u16 v30, v30, v34
	v_lshrrev_b32_e32 v34, 22, v45
	v_and_b32_e32 v45, 0xffff, v47
	v_add_co_u32 v15, s0, s8, v15
	v_add_nc_u32_e32 v48, 0x4e0, v1
	v_and_b32_e32 v29, 0xffff, v29
	v_and_b32_e32 v55, 0xffff, v7
	;; [unrolled: 1-line block ×3, first 2 shown]
	v_mul_lo_u16 v34, 0x168, v34
	v_mul_u32_u24_e32 v45, 0x2d83, v45
	v_lshlrev_b32_e32 v32, 2, v26
	s_wait_alu 0xf1ff
	v_add_co_ci_u32_e64 v16, s0, s9, v16, s0
	v_add_nc_u32_e32 v53, 0x540, v1
	v_lshlrev_b32_e32 v63, 2, v29
	v_mul_u32_u24_e32 v55, 0x2d83, v55
	v_lshlrev_b32_e32 v65, 2, v30
	v_and_b32_e32 v67, 0xffff, v48
	v_sub_nc_u16 v34, v36, v34
	v_lshrrev_b32_e32 v36, 22, v45
	s_clause 0x5
	global_load_b32 v32, v32, s[8:9] offset:1400
	global_load_b32 v15, v[15:16], off offset:1400
	global_load_b32 v16, v[13:14], off offset:2264
	;; [unrolled: 1-line block ×4, first 2 shown]
	global_load_b32 v65, v65, s[8:9] offset:1400
	v_lshrrev_b32_e32 v45, 22, v55
	global_load_b32 v55, v63, s[8:9] offset:1400
	v_mul_u32_u24_e32 v63, 0x2d83, v67
	v_mul_lo_u16 v67, 0x168, v36
	v_and_b32_e32 v71, 0xffff, v53
	v_mul_lo_u16 v45, 0x168, v45
	v_and_b32_e32 v34, 0xffff, v34
	v_lshrrev_b32_e32 v63, 22, v63
	v_sub_nc_u16 v47, v47, v67
	v_mul_u32_u24_e32 v67, 0x2d83, v71
	v_sub_nc_u16 v45, v7, v45
	v_lshlrev_b32_e32 v71, 2, v34
	v_mul_lo_u16 v63, 0x168, v63
	v_and_b32_e32 v47, 0xffff, v47
	v_lshrrev_b32_e32 v67, 22, v67
	v_and_b32_e32 v45, 0xffff, v45
	global_load_b32 v71, v71, s[8:9] offset:1400
	v_sub_nc_u16 v48, v48, v63
	v_lshlrev_b32_e32 v63, 2, v47
	v_mul_lo_u16 v67, 0x168, v67
	v_lshlrev_b32_e32 v72, 2, v45
	v_cmp_lt_u32_e64 s0, 0x47, v1
	v_and_b32_e32 v48, 0xffff, v48
	v_lshlrev_b32_e32 v11, 1, v11
	v_sub_nc_u16 v53, v53, v67
	global_load_b32 v67, v72, s[8:9] offset:1400
	v_mul_u32_u24_e32 v2, 0x5a0, v2
	v_and_b32_e32 v53, 0xffff, v53
	s_delay_alu instid0(VALU_DEP_1)
	v_lshlrev_b32_e32 v73, 2, v53
	s_clause 0x1
	global_load_b32 v73, v73, s[8:9] offset:1400
	global_load_b32 v63, v63, s[8:9] offset:1400
	v_lshlrev_b32_e32 v72, 2, v48
	global_load_b32 v72, v72, s[8:9] offset:1400
	ds_load_u16 v74, v0 offset:2880
	ds_load_u16 v75, v0 offset:3072
	;; [unrolled: 1-line block ×4, first 2 shown]
	ds_load_u16 v81, v0
	ds_load_u16 v82, v0 offset:192
	ds_load_u16 v83, v0 offset:384
	;; [unrolled: 1-line block ×5, first 2 shown]
	s_wait_loadcnt 0xe
	v_lshrrev_b32_e32 v76, 16, v22
	s_wait_loadcnt 0xd
	v_lshrrev_b32_e32 v80, 16, v28
	s_wait_dscnt 0x9
	s_delay_alu instid0(VALU_DEP_2) | instskip(SKIP_1) | instid1(VALU_DEP_2)
	v_mul_f16_e32 v79, v74, v76
	v_mul_f16_e32 v76, v52, v76
	v_fma_f16 v52, v52, v22, -v79
	s_delay_alu instid0(VALU_DEP_2)
	v_fmac_f16_e32 v76, v74, v22
	ds_load_u16 v74, v0 offset:3648
	s_wait_dscnt 0x9
	v_mul_f16_e32 v22, v75, v80
	s_wait_loadcnt 0xc
	v_lshrrev_b32_e32 v79, 16, v31
	ds_load_u16 v87, v0 offset:3840
	ds_load_u16 v88, v0 offset:4032
	;; [unrolled: 1-line block ×5, first 2 shown]
	v_mul_f16_e32 v80, v23, v80
	v_sub_f16_e32 v52, v24, v52
	v_fma_f16 v22, v23, v28, -v22
	s_wait_dscnt 0xd
	v_mul_f16_e32 v92, v77, v79
	v_mul_f16_e32 v79, v39, v79
	v_fmac_f16_e32 v80, v75, v28
	v_fma_f16 v24, v24, 2.0, -v52
	v_sub_f16_e32 v22, v25, v22
	v_fma_f16 v28, v39, v31, -v92
	v_fmac_f16_e32 v79, v77, v31
	ds_load_u16 v75, v18 offset:1152
	ds_load_u16 v77, v18 offset:1344
	v_fma_f16 v25, v25, 2.0, -v22
	v_sub_f16_e32 v28, v27, v28
	s_wait_dscnt 0xb
	v_sub_f16_e32 v79, v83, v79
	s_delay_alu instid0(VALU_DEP_2)
	v_fma_f16 v27, v27, 2.0, -v28
	s_wait_loadcnt 0xa
	v_lshrrev_b32_e32 v23, 16, v15
	s_wait_loadcnt 0x7
	v_lshrrev_b32_e32 v31, 16, v46
	s_wait_dscnt 0x8
	s_delay_alu instid0(VALU_DEP_2) | instskip(SKIP_3) | instid1(VALU_DEP_3)
	v_mul_f16_e32 v39, v86, v23
	v_mul_f16_e32 v23, v40, v23
	s_wait_dscnt 0x7
	v_mul_f16_e32 v92, v74, v31
	v_fma_f16 v39, v40, v15, -v39
	v_lshrrev_b32_e32 v40, 16, v42
	v_fmac_f16_e32 v23, v86, v15
	v_mul_f16_e32 v15, v41, v31
	v_fma_f16 v31, v41, v46, -v92
	v_lshrrev_b32_e32 v41, 16, v16
	s_wait_dscnt 0x6
	v_mul_f16_e32 v86, v87, v40
	v_mul_f16_e32 v40, v43, v40
	v_fmac_f16_e32 v15, v74, v46
	v_lshrrev_b32_e32 v46, 16, v32
	s_wait_dscnt 0x5
	v_mul_f16_e32 v74, v88, v41
	v_fma_f16 v43, v43, v42, -v86
	ds_load_u16 v86, v0 offset:4800
	v_mul_f16_e32 v41, v44, v41
	v_fmac_f16_e32 v40, v87, v42
	s_wait_dscnt 0x5
	v_mul_f16_e32 v42, v89, v46
	v_fma_f16 v44, v44, v16, -v74
	s_wait_loadcnt 0x5
	v_lshrrev_b32_e32 v74, 16, v55
	v_fmac_f16_e32 v41, v88, v16
	ds_load_u16 v87, v0 offset:4992
	ds_load_u16 v88, v0 offset:5184
	;; [unrolled: 1-line block ×3, first 2 shown]
	v_fma_f16 v16, v49, v32, -v42
	v_mul_f16_e32 v42, v49, v46
	s_wait_dscnt 0x7
	v_mul_f16_e32 v46, v90, v74
	v_mul_f16_e32 v49, v50, v74
	v_lshrrev_b32_e32 v74, 16, v65
	v_sub_f16_e32 v39, v33, v39
	v_fmac_f16_e32 v42, v89, v32
	v_fma_f16 v32, v50, v55, -v46
	v_fmac_f16_e32 v49, v90, v55
	s_wait_dscnt 0x6
	v_mul_f16_e32 v46, v91, v74
	v_mul_f16_e32 v50, v51, v74
	s_wait_loadcnt 0x4
	v_lshrrev_b32_e32 v55, 16, v71
	ds_load_u16 v74, v17
	ds_load_u16 v89, v0 offset:5568
	ds_load_u16 v90, v20
	v_fma_f16 v46, v51, v65, -v46
	v_fmac_f16_e32 v50, v91, v65
	s_wait_dscnt 0x6
	v_mul_f16_e32 v51, v86, v55
	v_mul_f16_e32 v55, v60, v55
	s_wait_loadcnt 0x1
	v_lshrrev_b32_e32 v65, 16, v63
	v_lshrrev_b32_e32 v91, 16, v67
	v_sub_f16_e32 v16, v38, v16
	v_fma_f16 v51, v60, v71, -v51
	v_fmac_f16_e32 v55, v86, v71
	s_wait_dscnt 0x5
	v_mul_f16_e32 v60, v87, v65
	v_mul_f16_e32 v65, v61, v65
	s_wait_dscnt 0x4
	v_mul_f16_e32 v71, v88, v91
	v_mul_f16_e32 v86, v62, v91
	s_wait_loadcnt 0x0
	v_lshrrev_b32_e32 v91, 16, v72
	v_fma_f16 v60, v61, v63, -v60
	v_fmac_f16_e32 v65, v87, v63
	v_fma_f16 v61, v62, v67, -v71
	v_fmac_f16_e32 v86, v88, v67
	s_wait_dscnt 0x3
	v_mul_f16_e32 v62, v92, v91
	v_mul_f16_e32 v63, v64, v91
	ds_load_u16 v71, v18 offset:1728
	ds_load_u16 v87, v18 offset:2112
	;; [unrolled: 1-line block ×3, first 2 shown]
	v_lshrrev_b32_e32 v67, 16, v73
	v_sub_f16_e32 v31, v69, v31
	v_fma_f16 v62, v64, v72, -v62
	v_fmac_f16_e32 v63, v92, v72
	ds_load_u16 v72, v19
	ds_load_u16 v91, v18 offset:2688
	s_wait_dscnt 0x6
	v_mul_f16_e32 v64, v89, v67
	v_mul_f16_e32 v67, v70, v67
	global_wb scope:SCOPE_SE
	s_wait_dscnt 0x0
	s_barrier_signal -1
	s_barrier_wait -1
	global_inv scope:SCOPE_SE
	v_fmac_f16_e32 v67, v89, v73
	s_wait_alu 0xf1ff
	v_cndmask_b32_e64 v89, 0, 0x5a0, s0
	ds_store_b16 v0, v24
	ds_store_b16 v0, v25 offset:192
	ds_store_b16 v0, v27 offset:384
	;; [unrolled: 1-line block ×5, first 2 shown]
	v_lshlrev_b32_e32 v22, 1, v26
	v_fma_f16 v64, v70, v73, -v64
	v_sub_f16_e32 v70, v81, v76
	v_sub_f16_e32 v43, v35, v43
	;; [unrolled: 1-line block ×6, first 2 shown]
	v_mul_u32_u24_e32 v24, 0x5a0, v36
	v_lshlrev_b32_e32 v25, 1, v47
	v_sub_f16_e32 v73, v82, v80
	v_sub_f16_e32 v44, v37, v44
	v_fma_f16 v33, v33, 2.0, -v39
	v_fma_f16 v38, v38, 2.0, -v16
	v_sub_f16_e32 v46, v57, v46
	v_sub_f16_e32 v62, v59, v62
	v_add3_u32 v11, 0, v89, v11
	v_add3_u32 v2, 0, v2, v22
	v_fma_f16 v69, v69, 2.0, -v31
	v_sub_f16_e32 v51, v54, v51
	v_sub_f16_e32 v64, v68, v64
	v_fma_f16 v76, v81, 2.0, -v70
	v_sub_f16_e32 v23, v84, v23
	v_fma_f16 v81, v83, 2.0, -v79
	v_sub_f16_e32 v15, v74, v15
	v_sub_f16_e32 v41, v75, v41
	v_fma_f16 v35, v35, 2.0, -v43
	v_fma_f16 v83, v85, 2.0, -v40
	v_sub_f16_e32 v42, v77, v42
	v_sub_f16_e32 v49, v72, v49
	;; [unrolled: 1-line block ×3, first 2 shown]
	v_fma_f16 v66, v66, 2.0, -v32
	v_sub_f16_e32 v55, v78, v55
	v_sub_f16_e32 v65, v87, v65
	v_fma_f16 v58, v58, 2.0, -v60
	v_sub_f16_e32 v85, v90, v86
	v_fma_f16 v56, v56, 2.0, -v61
	v_sub_f16_e32 v63, v88, v63
	v_sub_f16_e32 v67, v91, v67
	v_lshl_add_u32 v22, v29, 1, 0
	v_add3_u32 v24, 0, v24, v25
	v_lshl_add_u32 v25, v45, 1, 0
	v_fma_f16 v80, v82, 2.0, -v73
	v_fma_f16 v37, v37, 2.0, -v44
	;; [unrolled: 1-line block ×4, first 2 shown]
	ds_store_b16 v11, v33
	ds_store_b16 v11, v39 offset:720
	ds_store_b16 v18, v69 offset:1488
	;; [unrolled: 1-line block ×7, first 2 shown]
	ds_store_b16 v2, v38
	ds_store_b16 v2, v16 offset:720
	v_lshl_add_u32 v16, v30, 1, 0
	v_lshl_add_u32 v27, v48, 1, 0
	v_fma_f16 v54, v54, 2.0, -v51
	v_fma_f16 v68, v68, 2.0, -v64
	v_lshl_add_u32 v26, v34, 1, 0
	v_lshl_add_u32 v28, v53, 1, 0
	v_fma_f16 v82, v84, 2.0, -v23
	v_fma_f16 v74, v74, 2.0, -v15
	;; [unrolled: 1-line block ×11, first 2 shown]
	ds_store_b16 v22, v66 offset:2880
	ds_store_b16 v22, v32 offset:3600
	ds_store_b16 v16, v57 offset:2880
	ds_store_b16 v16, v46 offset:3600
	ds_store_b16 v26, v54 offset:2880
	ds_store_b16 v26, v51 offset:3600
	ds_store_b16 v24, v58
	ds_store_b16 v24, v60 offset:720
	ds_store_b16 v25, v56 offset:4320
	ds_store_b16 v25, v61 offset:5040
	ds_store_b16 v27, v59 offset:4320
	ds_store_b16 v27, v62 offset:5040
	ds_store_b16 v28, v68 offset:4320
	ds_store_b16 v28, v64 offset:5040
	global_wb scope:SCOPE_SE
	s_wait_dscnt 0x0
	s_barrier_signal -1
	s_barrier_wait -1
	global_inv scope:SCOPE_SE
	ds_load_u16 v29, v0 offset:3072
	ds_load_u16 v30, v0
	ds_load_u16 v31, v0 offset:192
	ds_load_u16 v32, v0 offset:384
	;; [unrolled: 1-line block ×16, first 2 shown]
	ds_load_u16 v52, v20
	ds_load_u16 v53, v18 offset:1728
	ds_load_u16 v54, v18 offset:2112
	;; [unrolled: 1-line block ×7, first 2 shown]
	ds_load_u16 v61, v19
	ds_load_u16 v62, v18 offset:2688
	ds_load_u16 v64, v17
	ds_load_u16 v66, v0 offset:5568
	global_wb scope:SCOPE_SE
	s_wait_dscnt 0x0
	s_barrier_signal -1
	s_barrier_wait -1
	global_inv scope:SCOPE_SE
	ds_store_b16 v0, v76
	ds_store_b16 v0, v80 offset:192
	ds_store_b16 v0, v81 offset:384
	ds_store_b16 v0, v70 offset:720
	ds_store_b16 v0, v73 offset:912
	ds_store_b16 v0, v79 offset:1104
	ds_store_b16 v11, v82
	ds_store_b16 v11, v23 offset:720
	ds_store_b16 v18, v74 offset:1488
	ds_store_b16 v18, v83 offset:1680
	ds_store_b16 v18, v75 offset:1872
	ds_store_b16 v18, v15 offset:2208
	ds_store_b16 v18, v40 offset:2400
	ds_store_b16 v18, v41 offset:2592
	ds_store_b16 v2, v77
	ds_store_b16 v2, v42 offset:720
	ds_store_b16 v22, v72 offset:2880
	;; [unrolled: 8-line block ×3, first 2 shown]
	ds_store_b16 v25, v85 offset:5040
	ds_store_b16 v27, v87 offset:4320
	;; [unrolled: 1-line block ×5, first 2 shown]
	global_wb scope:SCOPE_SE
	s_wait_dscnt 0x0
	s_barrier_signal -1
	s_barrier_wait -1
	global_inv scope:SCOPE_SE
	s_clause 0x1
	global_load_b32 v2, v[13:14], off offset:2840
	global_load_b32 v22, v[13:14], off offset:3224
	v_add_co_u32 v15, s0, s8, v9
	global_load_b32 v23, v[13:14], off offset:3608
	s_wait_alu 0xf1ff
	v_add_co_ci_u32_e64 v16, s0, s9, v10, s0
	v_subrev_nc_u32_e32 v9, 48, v1
	v_cmp_gt_u32_e64 s0, 48, v1
	s_clause 0x1
	global_load_b32 v24, v[13:14], off offset:3992
	global_load_b32 v25, v[15:16], off offset:2840
	s_wait_alu 0xf1ff
	v_cndmask_b32_e64 v11, v9, v21, s0
	s_clause 0x1
	global_load_b32 v21, v[13:14], off offset:4760
	global_load_b32 v26, v[13:14], off offset:5144
	v_lshlrev_b64_e32 v[9:10], 2, v[11:12]
	v_lshlrev_b32_e32 v11, 1, v11
	s_delay_alu instid0(VALU_DEP_2) | instskip(SKIP_1) | instid1(VALU_DEP_3)
	v_add_co_u32 v9, s0, s8, v9
	s_wait_alu 0xf1ff
	v_add_co_ci_u32_e64 v10, s0, s9, v10, s0
	s_clause 0x7
	global_load_b32 v9, v[9:10], off offset:2840
	global_load_b32 v10, v[13:14], off offset:4184
	;; [unrolled: 1-line block ×8, first 2 shown]
	ds_load_u16 v50, v0 offset:2880
	ds_load_u16 v55, v0 offset:3072
	ds_load_u16 v63, v0
	ds_load_u16 v65, v0 offset:192
	ds_load_u16 v67, v0 offset:384
	;; [unrolled: 1-line block ×15, first 2 shown]
	ds_load_u16 v82, v20
	ds_load_u16 v85, v18 offset:1728
	ds_load_u16 v86, v18 offset:2112
	;; [unrolled: 1-line block ×7, first 2 shown]
	v_cmp_lt_u32_e64 s0, 47, v1
	s_wait_loadcnt 0xe
	v_lshrrev_b32_e32 v72, 16, v2
	s_wait_loadcnt 0xd
	v_lshrrev_b32_e32 v84, 16, v22
	;; [unrolled: 2-line block ×3, first 2 shown]
	s_wait_dscnt 0x19
	v_mul_f16_e32 v83, v50, v72
	s_delay_alu instid0(VALU_DEP_1) | instskip(SKIP_3) | instid1(VALU_DEP_2)
	v_fma_f16 v83, v48, v2, -v83
	v_mul_f16_e32 v48, v48, v72
	s_wait_dscnt 0x18
	v_mul_f16_e32 v72, v55, v84
	v_fmac_f16_e32 v48, v50, v2
	v_mul_f16_e32 v2, v29, v84
	s_delay_alu instid0(VALU_DEP_3)
	v_fma_f16 v29, v29, v22, -v72
	s_wait_dscnt 0x10
	v_mul_f16_e32 v50, v73, v88
	v_mul_f16_e32 v72, v37, v88
	s_wait_loadcnt 0xb
	v_lshrrev_b32_e32 v84, 16, v24
	v_fmac_f16_e32 v2, v55, v22
	s_wait_loadcnt 0xa
	v_lshrrev_b32_e32 v22, 16, v25
	v_fma_f16 v37, v37, v23, -v50
	v_fmac_f16_e32 v72, v73, v23
	s_wait_dscnt 0xf
	v_mul_f16_e32 v23, v74, v84
	v_mul_f16_e32 v50, v38, v84
	s_wait_dscnt 0xe
	v_mul_f16_e32 v55, v75, v22
	s_wait_loadcnt 0x9
	v_lshrrev_b32_e32 v88, 16, v21
	v_mul_f16_e32 v22, v39, v22
	v_fma_f16 v23, v38, v24, -v23
	v_fmac_f16_e32 v50, v74, v24
	v_fma_f16 v24, v39, v25, -v55
	s_wait_dscnt 0xd
	v_mul_f16_e32 v38, v76, v88
	s_wait_loadcnt 0x8
	v_lshrrev_b32_e32 v39, 16, v26
	v_mul_f16_e32 v88, v43, v88
	v_fmac_f16_e32 v22, v75, v25
	s_wait_loadcnt 0x4
	v_lshrrev_b32_e32 v75, 16, v28
	v_fma_f16 v25, v43, v21, -v38
	s_wait_dscnt 0xc
	v_mul_f16_e32 v38, v77, v39
	v_lshrrev_b32_e32 v43, 16, v9
	v_fmac_f16_e32 v88, v76, v21
	v_mul_f16_e32 v21, v44, v39
	s_wait_loadcnt 0x3
	v_lshrrev_b32_e32 v39, 16, v40
	v_fma_f16 v38, v44, v26, -v38
	s_wait_dscnt 0xb
	v_mul_f16_e32 v44, v78, v43
	v_mul_f16_e32 v43, v45, v43
	v_fmac_f16_e32 v21, v77, v26
	s_wait_dscnt 0xa
	v_mul_f16_e32 v26, v79, v39
	ds_load_u16 v73, v19
	ds_load_u16 v84, v18 offset:2688
	v_fma_f16 v44, v45, v9, -v44
	v_fmac_f16_e32 v43, v78, v9
	v_mul_f16_e32 v9, v46, v39
	ds_load_u16 v55, v17
	ds_load_u16 v74, v0 offset:5568
	v_fma_f16 v26, v46, v40, -v26
	s_wait_dscnt 0xd
	v_mul_f16_e32 v39, v80, v75
	v_lshrrev_b32_e32 v45, 16, v27
	v_mul_f16_e32 v46, v47, v75
	v_fmac_f16_e32 v9, v79, v40
	v_lshrrev_b32_e32 v40, 16, v10
	v_fma_f16 v39, v47, v28, -v39
	s_wait_dscnt 0x7
	v_mul_f16_e32 v47, v89, v45
	v_fmac_f16_e32 v46, v80, v28
	v_mul_f16_e32 v28, v57, v45
	s_wait_dscnt 0x6
	v_mul_f16_e32 v45, v90, v40
	s_wait_loadcnt 0x0
	v_lshrrev_b32_e32 v75, 16, v49
	v_fma_f16 v47, v57, v27, -v47
	v_mul_f16_e32 v40, v58, v40
	v_fmac_f16_e32 v28, v89, v27
	v_fma_f16 v27, v58, v10, -v45
	s_wait_dscnt 0x5
	v_mul_f16_e32 v45, v91, v75
	v_lshrrev_b32_e32 v57, 16, v42
	v_fmac_f16_e32 v40, v90, v10
	v_lshrrev_b32_e32 v10, 16, v41
	v_mul_f16_e32 v58, v59, v75
	v_fma_f16 v45, v59, v49, -v45
	s_wait_dscnt 0x4
	v_mul_f16_e32 v59, v92, v57
	v_mul_f16_e32 v57, v60, v57
	s_wait_dscnt 0x0
	v_mul_f16_e32 v75, v74, v10
	v_fmac_f16_e32 v58, v91, v49
	v_sub_f16_e32 v29, v31, v29
	v_fma_f16 v49, v60, v42, -v59
	v_sub_f16_e32 v59, v30, v83
	v_mul_f16_e32 v10, v66, v10
	v_fmac_f16_e32 v57, v92, v42
	v_fma_f16 v42, v66, v41, -v75
	v_sub_f16_e32 v66, v65, v2
	v_fma_f16 v2, v30, 2.0, -v59
	v_sub_f16_e32 v30, v32, v37
	v_sub_f16_e32 v23, v33, v23
	;; [unrolled: 1-line block ×3, first 2 shown]
	v_fma_f16 v31, v31, 2.0, -v29
	v_fmac_f16_e32 v10, v74, v41
	v_fma_f16 v32, v32, 2.0, -v30
	v_sub_f16_e32 v74, v55, v22
	v_fma_f16 v22, v33, 2.0, -v23
	v_sub_f16_e32 v37, v35, v38
	v_sub_f16_e32 v24, v64, v24
	;; [unrolled: 1-line block ×3, first 2 shown]
	v_fma_f16 v21, v34, 2.0, -v25
	v_sub_f16_e32 v34, v36, v44
	v_sub_f16_e32 v76, v71, v43
	;; [unrolled: 1-line block ×12, first 2 shown]
	global_wb scope:SCOPE_SE
	s_barrier_signal -1
	s_barrier_wait -1
	global_inv scope:SCOPE_SE
	ds_store_b16 v0, v2
	ds_store_b16 v0, v31 offset:192
	ds_store_b16 v0, v32 offset:384
	;; [unrolled: 1-line block ×3, first 2 shown]
	s_wait_alu 0xf1ff
	v_cndmask_b32_e64 v2, 0, 0xb40, s0
	v_fma_f16 v35, v35, 2.0, -v37
	v_fma_f16 v33, v64, 2.0, -v24
	;; [unrolled: 1-line block ×6, first 2 shown]
	v_sub_f16_e32 v73, v81, v28
	v_fma_f16 v28, v51, 2.0, -v43
	v_fma_f16 v44, v54, 2.0, -v27
	;; [unrolled: 1-line block ×3, first 2 shown]
	v_sub_f16_e32 v52, v84, v10
	v_fma_f16 v10, v56, 2.0, -v46
	v_fma_f16 v47, v62, 2.0, -v42
	v_add3_u32 v11, 0, v2, v11
	v_sub_f16_e32 v60, v63, v48
	ds_store_b16 v0, v59 offset:1440
	ds_store_b16 v0, v29 offset:1632
	;; [unrolled: 1-line block ×4, first 2 shown]
	ds_store_b16 v17, v33
	ds_store_b16 v17, v24 offset:1440
	ds_store_b16 v0, v21 offset:960
	;; [unrolled: 1-line block ×5, first 2 shown]
	ds_store_b16 v11, v36
	ds_store_b16 v11, v34 offset:1440
	ds_store_b16 v18, v39 offset:2976
	;; [unrolled: 1-line block ×15, first 2 shown]
	global_wb scope:SCOPE_SE
	s_wait_dscnt 0x0
	s_barrier_signal -1
	s_barrier_wait -1
	global_inv scope:SCOPE_SE
	ds_load_u16 v37, v0 offset:3072
	ds_load_u16 v36, v0
	ds_load_u16 v35, v0 offset:192
	ds_load_u16 v33, v0 offset:384
	;; [unrolled: 1-line block ×16, first 2 shown]
	ds_load_u16 v21, v20
	ds_load_u16 v28, v18 offset:1728
	ds_load_u16 v10, v18 offset:2112
	;; [unrolled: 1-line block ×7, first 2 shown]
	ds_load_u16 v22, v19
	ds_load_u16 v29, v18 offset:2688
	ds_load_u16 v25, v17
	ds_load_u16 v48, v0 offset:5568
	v_sub_f16_e32 v72, v67, v72
	v_sub_f16_e32 v50, v68, v50
	v_fma_f16 v63, v63, 2.0, -v60
	v_sub_f16_e32 v64, v69, v88
	v_sub_f16_e32 v58, v82, v58
	;; [unrolled: 1-line block ×3, first 2 shown]
	v_fma_f16 v65, v65, 2.0, -v66
	v_fma_f16 v67, v67, 2.0, -v72
	;; [unrolled: 1-line block ×13, first 2 shown]
	global_wb scope:SCOPE_SE
	s_wait_dscnt 0x0
	s_barrier_signal -1
	s_barrier_wait -1
	global_inv scope:SCOPE_SE
	ds_store_b16 v0, v63
	ds_store_b16 v0, v65 offset:192
	ds_store_b16 v0, v67 offset:384
	ds_store_b16 v0, v68 offset:576
	ds_store_b16 v0, v60 offset:1440
	ds_store_b16 v0, v66 offset:1632
	ds_store_b16 v0, v72 offset:1824
	ds_store_b16 v0, v50 offset:2016
	ds_store_b16 v17, v55
	ds_store_b16 v17, v74 offset:1440
	ds_store_b16 v0, v69 offset:960
	;; [unrolled: 1-line block ×5, first 2 shown]
	ds_store_b16 v11, v71
	ds_store_b16 v11, v76 offset:1440
	ds_store_b16 v18, v61 offset:2976
	;; [unrolled: 1-line block ×15, first 2 shown]
	global_wb scope:SCOPE_SE
	s_wait_dscnt 0x0
	s_barrier_signal -1
	s_barrier_wait -1
	global_inv scope:SCOPE_SE
	s_and_saveexec_b32 s0, vcc_lo
	s_cbranch_execz .LBB0_15
; %bb.14:
	s_clause 0x6
	global_load_b32 v67, v[13:14], off offset:11096
	global_load_b32 v68, v[13:14], off offset:9176
	;; [unrolled: 1-line block ×7, first 2 shown]
	v_mov_b32_e32 v9, v12
	v_add_nc_u32_e32 v11, 0x60, v1
	v_lshlrev_b64_e32 v[3:4], 2, v[3:4]
	global_load_b32 v74, v[13:14], off offset:5720
	v_lshlrev_b64_e32 v[49:50], 2, v[8:9]
	v_mov_b32_e32 v8, v12
	global_load_b32 v9, v[13:14], off offset:6104
	v_lshrrev_b32_e32 v51, 5, v11
	v_lshlrev_b64_e32 v[7:8], 2, v[7:8]
	v_add_co_u32 v49, vcc_lo, s8, v49
	s_wait_alu 0xfffd
	v_add_co_ci_u32_e32 v50, vcc_lo, s9, v50, vcc_lo
	s_clause 0x2
	global_load_b32 v75, v[49:50], off offset:5720
	global_load_b32 v76, v[15:16], off offset:5720
	;; [unrolled: 1-line block ×3, first 2 shown]
	v_add_co_u32 v7, vcc_lo, s8, v7
	s_wait_alu 0xfffd
	v_add_co_ci_u32_e32 v8, vcc_lo, s9, v8, vcc_lo
	s_clause 0x2
	global_load_b32 v78, v[7:8], off offset:5720
	global_load_b32 v79, v[13:14], off offset:9944
	;; [unrolled: 1-line block ×3, first 2 shown]
	ds_load_u16 v81, v17
	ds_load_u16 v17, v0 offset:5568
	ds_load_u16 v82, v0 offset:5376
	;; [unrolled: 1-line block ×7, first 2 shown]
	v_mul_lo_u32 v7, s3, v5
	v_mul_lo_u32 v8, s2, v6
	v_mad_co_u64_u32 v[5:6], null, s2, v5, 0
	v_add_nc_u32_e32 v13, 0xc0, v1
	v_add_nc_u32_e32 v14, 0x120, v1
	;; [unrolled: 1-line block ×5, first 2 shown]
	v_lshrrev_b32_e32 v52, 5, v13
	v_add3_u32 v6, v6, v8, v7
	v_mul_hi_u32 v7, 0x5b05b06, v51
	v_lshrrev_b32_e32 v53, 5, v14
	v_lshrrev_b32_e32 v54, 5, v15
	v_mul_hi_u32 v51, 0x5b05b06, v52
	v_lshlrev_b64_e32 v[5:6], 2, v[5:6]
	v_add_nc_u32_e32 v50, 0x2a0, v1
	v_mul_hi_u32 v52, 0x5b05b06, v53
	v_mul_hi_u32 v53, 0x5b05b06, v54
	v_mul_u32_u24_e32 v8, 0x5a0, v7
	v_lshrrev_b32_e32 v55, 5, v16
	v_add_co_u32 v62, vcc_lo, s6, v5
	v_mul_u32_u24_e32 v54, 0x5a0, v51
	s_delay_alu instid0(VALU_DEP_4)
	v_sub_nc_u32_e32 v8, v11, v8
	s_wait_alu 0xfffd
	v_add_co_ci_u32_e32 v63, vcc_lo, s7, v6, vcc_lo
	v_lshrrev_b32_e32 v56, 5, v49
	v_sub_nc_u32_e32 v13, v13, v54
	v_mad_u32_u24 v11, 0xb40, v7, v8
	v_lshrrev_b32_e32 v57, 5, v50
	v_mul_hi_u32 v58, 0x5b05b06, v55
	v_mul_u32_u24_e32 v55, 0x5a0, v52
	v_mul_hi_u32 v61, 0x5b05b06, v56
	v_lshlrev_b64_e32 v[5:6], 2, v[11:12]
	v_add_nc_u32_e32 v11, 0x5a0, v11
	v_mul_hi_u32 v65, 0x5b05b06, v57
	v_mul_u32_u24_e32 v56, 0x5a0, v53
	v_sub_nc_u32_e32 v54, v14, v55
	v_mul_u32_u24_e32 v57, 0x5a0, v58
	v_lshlrev_b64_e32 v[7:8], 2, v[11:12]
	v_mad_u32_u24 v11, 0xb40, v51, v13
	v_mul_u32_u24_e32 v59, 0x5a0, v61
	v_sub_nc_u32_e32 v55, v15, v56
	v_mul_u32_u24_e32 v60, 0x5a0, v65
	v_sub_nc_u32_e32 v57, v16, v57
	v_lshlrev_b64_e32 v[13:14], 2, v[11:12]
	v_add_nc_u32_e32 v11, 0x5a0, v11
	v_sub_nc_u32_e32 v64, v49, v59
	v_sub_nc_u32_e32 v66, v50, v60
	v_add_co_u32 v3, vcc_lo, v62, v3
	s_delay_alu instid0(VALU_DEP_4) | instskip(SKIP_4) | instid1(VALU_DEP_3)
	v_lshlrev_b64_e32 v[15:16], 2, v[11:12]
	v_mad_u32_u24 v11, 0xb40, v52, v54
	s_wait_alu 0xfffd
	v_add_co_ci_u32_e32 v4, vcc_lo, v63, v4, vcc_lo
	v_add_co_u32 v5, vcc_lo, v3, v5
	v_lshlrev_b64_e32 v[49:50], 2, v[11:12]
	v_add_nc_u32_e32 v11, 0x5a0, v11
	s_wait_alu 0xfffd
	v_add_co_ci_u32_e32 v6, vcc_lo, v4, v6, vcc_lo
	v_add_co_u32 v7, vcc_lo, v3, v7
	s_delay_alu instid0(VALU_DEP_3) | instskip(SKIP_4) | instid1(VALU_DEP_3)
	v_lshlrev_b64_e32 v[51:52], 2, v[11:12]
	v_mad_u32_u24 v11, 0xb40, v53, v55
	s_wait_alu 0xfffd
	v_add_co_ci_u32_e32 v8, vcc_lo, v4, v8, vcc_lo
	v_add_co_u32 v13, vcc_lo, v3, v13
	v_lshlrev_b64_e32 v[53:54], 2, v[11:12]
	v_add_nc_u32_e32 v11, 0x5a0, v11
	s_wait_alu 0xfffd
	v_add_co_ci_u32_e32 v14, vcc_lo, v4, v14, vcc_lo
	v_add_co_u32 v15, vcc_lo, v3, v15
	s_delay_alu instid0(VALU_DEP_3) | instskip(SKIP_4) | instid1(VALU_DEP_3)
	v_lshlrev_b64_e32 v[55:56], 2, v[11:12]
	v_mad_u32_u24 v11, 0xb40, v58, v57
	s_wait_alu 0xfffd
	v_add_co_ci_u32_e32 v16, vcc_lo, v4, v16, vcc_lo
	v_add_co_u32 v49, vcc_lo, v3, v49
	v_lshlrev_b64_e32 v[57:58], 2, v[11:12]
	v_add_nc_u32_e32 v11, 0x5a0, v11
	s_wait_alu 0xfffd
	v_add_co_ci_u32_e32 v50, vcc_lo, v4, v50, vcc_lo
	v_add_co_u32 v51, vcc_lo, v3, v51
	s_delay_alu instid0(VALU_DEP_3)
	v_lshlrev_b64_e32 v[59:60], 2, v[11:12]
	v_mad_u32_u24 v11, 0xb40, v61, v64
	s_wait_alu 0xfffd
	v_add_co_ci_u32_e32 v52, vcc_lo, v4, v52, vcc_lo
	v_add_co_u32 v53, vcc_lo, v3, v53
	s_wait_alu 0xfffd
	v_add_co_ci_u32_e32 v54, vcc_lo, v4, v54, vcc_lo
	v_lshlrev_b64_e32 v[61:62], 2, v[11:12]
	v_add_nc_u32_e32 v11, 0x5a0, v11
	v_add_co_u32 v55, vcc_lo, v3, v55
	s_wait_alu 0xfffd
	v_add_co_ci_u32_e32 v56, vcc_lo, v4, v56, vcc_lo
	v_add_co_u32 v57, vcc_lo, v3, v57
	v_lshlrev_b64_e32 v[63:64], 2, v[11:12]
	v_mad_u32_u24 v11, 0xb40, v65, v66
	s_wait_alu 0xfffd
	v_add_co_ci_u32_e32 v58, vcc_lo, v4, v58, vcc_lo
	v_add_co_u32 v59, vcc_lo, v3, v59
	s_wait_alu 0xfffd
	v_add_co_ci_u32_e32 v60, vcc_lo, v4, v60, vcc_lo
	v_add_co_u32 v61, vcc_lo, v3, v61
	v_lshlrev_b64_e32 v[65:66], 2, v[11:12]
	s_wait_alu 0xfffd
	v_add_co_ci_u32_e32 v62, vcc_lo, v4, v62, vcc_lo
	v_add_co_u32 v63, vcc_lo, v3, v63
	s_wait_alu 0xfffd
	v_add_co_ci_u32_e32 v64, vcc_lo, v4, v64, vcc_lo
	v_add_co_u32 v65, vcc_lo, v3, v65
	v_add_nc_u32_e32 v11, 0x5a0, v11
	s_wait_alu 0xfffd
	v_add_co_ci_u32_e32 v66, vcc_lo, v4, v66, vcc_lo
	s_wait_loadcnt 0xe
	v_lshrrev_b32_e32 v87, 16, v67
	s_wait_dscnt 0x6
	v_mul_f16_e32 v88, v67, v17
	s_wait_loadcnt 0xd
	v_lshrrev_b32_e32 v89, 16, v68
	v_mul_f16_e32 v17, v87, v17
	s_delay_alu instid0(VALU_DEP_3)
	v_fmac_f16_e32 v88, v48, v87
	s_wait_dscnt 0x4
	v_mul_f16_e32 v87, v68, v83
	v_mul_f16_e32 v83, v89, v83
	v_fma_f16 v48, v48, v67, -v17
	s_wait_loadcnt 0xc
	v_lshrrev_b32_e32 v17, 16, v69
	s_wait_dscnt 0x2
	v_mul_f16_e32 v67, v69, v85
	v_fmac_f16_e32 v87, v47, v89
	s_wait_loadcnt 0xb
	v_lshrrev_b32_e32 v89, 16, v70
	v_fma_f16 v47, v47, v68, -v83
	ds_load_u16 v68, v0 offset:3456
	v_mul_f16_e32 v83, v17, v85
	ds_load_u16 v85, v0 offset:3264
	v_fmac_f16_e32 v67, v46, v17
	s_wait_dscnt 0x3
	v_mul_f16_e32 v17, v70, v86
	v_mul_f16_e32 v86, v89, v86
	v_fma_f16 v46, v46, v69, -v83
	s_wait_loadcnt 0xa
	v_lshrrev_b32_e32 v83, 16, v71
	ds_load_u16 v69, v0 offset:3648
	v_fmac_f16_e32 v17, v45, v89
	s_wait_dscnt 0x3
	v_mul_f16_e32 v89, v71, v90
	v_fma_f16 v45, v45, v70, -v86
	ds_load_u16 v70, v0 offset:3072
	v_mul_f16_e32 v86, v83, v90
	ds_load_u16 v90, v0 offset:2880
	v_fmac_f16_e32 v89, v44, v83
	s_wait_loadcnt 0x9
	v_lshrrev_b32_e32 v83, 16, v72
	s_wait_loadcnt 0x5
	v_mul_f16_e32 v91, v75, v84
	v_fma_f16 v44, v44, v71, -v86
	v_lshrrev_b32_e32 v86, 16, v73
	s_wait_dscnt 0x4
	v_mul_f16_e32 v71, v72, v68
	v_mul_f16_e32 v68, v83, v68
	v_sub_f16_e32 v45, v32, v45
	v_sub_f16_e32 v44, v34, v44
	;; [unrolled: 1-line block ×3, first 2 shown]
	v_fmac_f16_e32 v71, v43, v83
	s_wait_dscnt 0x3
	v_mul_f16_e32 v83, v73, v85
	v_mul_f16_e32 v85, v86, v85
	v_fma_f16 v43, v43, v72, -v68
	ds_load_u16 v68, v0 offset:5184
	v_lshrrev_b32_e32 v72, 16, v9
	v_fmac_f16_e32 v83, v42, v86
	v_fma_f16 v42, v42, v73, -v85
	v_lshrrev_b32_e32 v73, 16, v74
	s_wait_dscnt 0x1
	v_mul_f16_e32 v85, v74, v90
	v_mul_f16_e32 v86, v9, v70
	;; [unrolled: 1-line block ×3, first 2 shown]
	v_sub_f16_e32 v42, v33, v42
	v_mul_f16_e32 v90, v73, v90
	v_fmac_f16_e32 v85, v40, v73
	ds_load_u16 v73, v0
	v_fmac_f16_e32 v86, v37, v72
	v_add_nc_u32_e32 v72, 0x300, v1
	v_fma_f16 v9, v37, v9, -v70
	s_wait_loadcnt 0x3
	v_lshrrev_b32_e32 v37, 16, v77
	v_fma_f16 v40, v40, v74, -v90
	v_mul_f16_e32 v74, v77, v82
	ds_load_u16 v90, v0 offset:4992
	v_lshrrev_b32_e32 v70, 5, v72
	v_mul_f16_e32 v82, v37, v82
	v_sub_f16_e32 v40, v36, v40
	v_fmac_f16_e32 v74, v41, v37
	s_wait_loadcnt 0x2
	v_lshrrev_b32_e32 v37, 16, v78
	v_mul_hi_u32 v70, 0x5b05b06, v70
	v_fma_f16 v41, v41, v77, -v82
	s_wait_dscnt 0x2
	v_mul_f16_e32 v77, v78, v68
	v_fma_f16 v36, v36, 2.0, -v40
	v_mul_f16_e32 v68, v37, v68
	v_sub_f16_e32 v9, v35, v9
	v_sub_f16_e32 v43, v31, v43
	v_fmac_f16_e32 v77, v39, v37
	v_mul_u32_u24_e32 v37, 0x5a0, v70
	v_fma_f16 v39, v39, v78, -v68
	ds_load_u16 v68, v0 offset:4800
	ds_load_u16 v82, v0 offset:192
	s_wait_dscnt 0x3
	v_sub_f16_e32 v85, v73, v85
	s_wait_loadcnt 0x1
	v_lshrrev_b32_e32 v78, 16, v79
	v_sub_nc_u32_e32 v37, v72, v37
	v_fma_f16 v35, v35, 2.0, -v9
	v_fma_f16 v33, v33, 2.0, -v42
	;; [unrolled: 1-line block ×3, first 2 shown]
	s_wait_dscnt 0x2
	v_mul_f16_e32 v73, v79, v90
	v_mul_f16_e32 v90, v78, v90
	v_pack_b32_f16 v40, v40, v85
	ds_load_u16 v85, v18 offset:1152
	v_fma_f16 v31, v31, 2.0, -v43
	v_fmac_f16_e32 v73, v38, v78
	v_fma_f16 v38, v38, v79, -v90
	ds_load_u16 v78, v0 offset:960
	ds_load_u16 v79, v0 offset:576
	;; [unrolled: 1-line block ×3, first 2 shown]
	v_fma_f16 v34, v34, 2.0, -v44
	ds_load_u16 v0, v0 offset:1920
	v_fma_f16 v32, v32, 2.0, -v45
	v_pack_b32_f16 v36, v36, v72
	v_fma_f16 v27, v27, 2.0, -v46
	s_wait_dscnt 0x5
	v_sub_f16_e32 v86, v82, v86
	v_sub_f16_e32 v47, v28, v47
	;; [unrolled: 1-line block ×3, first 2 shown]
	ds_load_u16 v72, v18 offset:2688
	v_fma_f16 v82, v82, 2.0, -v86
	v_pack_b32_f16 v9, v9, v86
	v_lshrrev_b32_e32 v86, 5, v1
	v_fma_f16 v28, v28, 2.0, -v47
	v_fma_f16 v29, v29, 2.0, -v48
	s_wait_dscnt 0x5
	v_sub_f16_e32 v17, v85, v17
	v_pack_b32_f16 v35, v35, v82
	s_wait_dscnt 0x4
	v_sub_f16_e32 v89, v78, v89
	s_wait_dscnt 0x3
	v_sub_f16_e32 v71, v79, v71
	s_wait_dscnt 0x2
	v_sub_f16_e32 v83, v90, v83
	v_mul_hi_u32 v86, 0x5b05b06, v86
	v_fma_f16 v85, v85, 2.0, -v17
	v_fma_f16 v78, v78, 2.0, -v89
	;; [unrolled: 1-line block ×4, first 2 shown]
	v_pack_b32_f16 v42, v42, v83
	s_wait_loadcnt 0x0
	v_lshrrev_b32_e32 v83, 16, v80
	v_pack_b32_f16 v43, v43, v71
	v_mul_f16_e32 v71, v80, v68
	v_pack_b32_f16 v44, v44, v89
	v_lshrrev_b32_e32 v89, 16, v75
	v_mul_f16_e32 v68, v83, v68
	v_pack_b32_f16 v45, v45, v17
	v_fmac_f16_e32 v71, v30, v83
	v_lshrrev_b32_e32 v17, 16, v76
	v_mul_f16_e32 v83, v89, v84
	v_fmac_f16_e32 v91, v26, v89
	ds_load_u16 v89, v18 offset:1344
	v_mul_f16_e32 v84, v76, v69
	v_mul_f16_e32 v69, v17, v69
	v_pack_b32_f16 v31, v31, v79
	v_pack_b32_f16 v33, v33, v90
	v_add_nc_u32_e32 v90, 0x360, v1
	v_fmac_f16_e32 v84, v24, v17
	v_mul_u32_u24_e32 v17, 0x5a0, v86
	ds_load_u16 v82, v18 offset:1728
	ds_load_u16 v86, v20
	ds_load_u16 v92, v19
	ds_load_u16 v79, v18 offset:2496
	ds_load_u16 v93, v18 offset:2112
	v_fma_f16 v24, v24, v76, -v69
	v_lshlrev_b64_e32 v[19:20], 2, v[11:12]
	v_sub_nc_u32_e32 v17, v1, v17
	v_sub_f16_e32 v69, v81, v84
	v_pack_b32_f16 v34, v34, v78
	v_lshrrev_b32_e32 v78, 5, v90
	v_fma_f16 v30, v30, v80, -v68
	v_lshlrev_b32_e32 v17, 2, v17
	v_pack_b32_f16 v32, v32, v85
	s_wait_dscnt 0x7
	v_sub_f16_e32 v71, v0, v71
	s_wait_dscnt 0x5
	v_sub_f16_e32 v67, v89, v67
	v_sub_f16_e32 v68, v72, v88
	v_add_co_u32 v17, vcc_lo, v3, v17
	s_wait_alu 0xfffd
	v_add_co_ci_u32_e32 v18, vcc_lo, 0, v4, vcc_lo
	v_fma_f16 v11, v89, 2.0, -v67
	s_clause 0x7
	global_store_b32 v[17:18], v36, off
	global_store_b32 v[17:18], v40, off offset:5760
	global_store_b32 v[5:6], v35, off
	global_store_b32 v[7:8], v9, off
	;; [unrolled: 1-line block ×6, first 2 shown]
	v_sub_f16_e32 v5, v25, v24
	v_pack_b32_f16 v27, v27, v11
	v_fma_f16 v11, v26, v75, -v83
	v_fma_f16 v6, v81, 2.0, -v69
	v_sub_f16_e32 v31, v10, v38
	v_fma_f16 v7, v25, 2.0, -v5
	v_pack_b32_f16 v5, v5, v69
	v_sub_f16_e32 v9, v22, v11
	v_mad_u32_u24 v11, 0xb40, v70, v37
	v_fma_f16 v25, v10, 2.0, -v31
	v_pack_b32_f16 v6, v7, v6
	s_clause 0x5
	global_store_b32 v[53:54], v6, off
	global_store_b32 v[55:56], v5, off
	;; [unrolled: 1-line block ×6, first 2 shown]
	v_fma_f16 v10, v22, 2.0, -v9
	v_mul_hi_u32 v22, 0x5b05b06, v78
	v_add_co_u32 v5, vcc_lo, v3, v19
	v_sub_f16_e32 v13, v2, v30
	v_add_nc_u32_e32 v30, 0x3c0, v1
	s_wait_alu 0xfffd
	v_add_co_ci_u32_e32 v6, vcc_lo, v4, v20, vcc_lo
	v_pack_b32_f16 v19, v46, v67
	v_lshlrev_b64_e32 v[7:8], 2, v[11:12]
	v_add_nc_u32_e32 v11, 0x5a0, v11
	v_mul_u32_u24_e32 v20, 0x5a0, v22
	s_clause 0x1
	global_store_b32 v[65:66], v27, off
	global_store_b32 v[5:6], v19, off
	v_lshrrev_b32_e32 v19, 5, v30
	s_wait_dscnt 0x2
	v_sub_f16_e32 v26, v92, v91
	v_lshlrev_b64_e32 v[5:6], 2, v[11:12]
	v_sub_nc_u32_e32 v11, v90, v20
	v_add_co_u32 v7, vcc_lo, v3, v7
	v_mul_hi_u32 v19, 0x5b05b06, v19
	v_fma_f16 v14, v92, 2.0, -v26
	s_delay_alu instid0(VALU_DEP_4)
	v_mad_u32_u24 v11, 0xb40, v22, v11
	s_wait_alu 0xfffd
	v_add_co_ci_u32_e32 v8, vcc_lo, v4, v8, vcc_lo
	v_add_co_u32 v5, vcc_lo, v3, v5
	v_pack_b32_f16 v14, v10, v14
	v_pack_b32_f16 v20, v9, v26
	v_lshlrev_b64_e32 v[9:10], 2, v[11:12]
	v_add_nc_u32_e32 v11, 0x5a0, v11
	v_mul_u32_u24_e32 v22, 0x5a0, v19
	v_add_nc_u32_e32 v26, 0x420, v1
	s_wait_alu 0xfffd
	v_add_co_ci_u32_e32 v6, vcc_lo, v4, v6, vcc_lo
	v_sub_f16_e32 v80, v82, v87
	s_clause 0x1
	global_store_b32 v[7:8], v14, off
	global_store_b32 v[5:6], v20, off
	v_lshlrev_b64_e32 v[5:6], 2, v[11:12]
	v_sub_nc_u32_e32 v11, v30, v22
	v_lshrrev_b32_e32 v14, 5, v26
	v_fma_f16 v82, v82, 2.0, -v80
	v_add_co_u32 v7, vcc_lo, v3, v9
	s_delay_alu instid0(VALU_DEP_4) | instskip(NEXT) | instid1(VALU_DEP_4)
	v_mad_u32_u24 v11, 0xb40, v19, v11
	v_mul_hi_u32 v14, 0x5b05b06, v14
	v_add_nc_u32_e32 v19, 0x480, v1
	s_wait_alu 0xfffd
	v_add_co_ci_u32_e32 v8, vcc_lo, v4, v10, vcc_lo
	v_add_co_u32 v5, vcc_lo, v3, v5
	v_pack_b32_f16 v20, v28, v82
	v_lshrrev_b32_e32 v28, 5, v19
	s_wait_alu 0xfffd
	v_add_co_ci_u32_e32 v6, vcc_lo, v4, v6, vcc_lo
	v_pack_b32_f16 v22, v47, v80
	v_lshlrev_b64_e32 v[9:10], 2, v[11:12]
	v_add_nc_u32_e32 v11, 0x5a0, v11
	v_mul_u32_u24_e32 v27, 0x5a0, v14
	s_clause 0x1
	global_store_b32 v[7:8], v20, off
	global_store_b32 v[5:6], v22, off
	v_mul_hi_u32 v20, 0x5b05b06, v28
	v_fma_f16 v0, v0, 2.0, -v71
	v_fma_f16 v2, v2, 2.0, -v13
	v_lshlrev_b64_e32 v[5:6], 2, v[11:12]
	v_sub_nc_u32_e32 v11, v26, v27
	v_add_nc_u32_e32 v22, 0x4e0, v1
	v_add_co_u32 v7, vcc_lo, v3, v9
	v_pack_b32_f16 v2, v2, v0
	s_delay_alu instid0(VALU_DEP_4)
	v_mad_u32_u24 v11, 0xb40, v14, v11
	v_mul_u32_u24_e32 v0, 0x5a0, v20
	s_wait_dscnt 0x0
	v_sub_f16_e32 v73, v93, v73
	s_wait_alu 0xfffd
	v_add_co_ci_u32_e32 v8, vcc_lo, v4, v10, vcc_lo
	v_lshlrev_b64_e32 v[9:10], 2, v[11:12]
	v_add_nc_u32_e32 v11, 0x5a0, v11
	v_sub_nc_u32_e32 v0, v19, v0
	v_lshrrev_b32_e32 v19, 5, v22
	v_fma_f16 v24, v93, 2.0, -v73
	v_pack_b32_f16 v26, v13, v71
	v_lshlrev_b64_e32 v[13:14], 2, v[11:12]
	v_mad_u32_u24 v11, 0xb40, v20, v0
	v_mul_hi_u32 v19, 0x5b05b06, v19
	v_add_nc_u32_e32 v20, 0x540, v1
	v_add_co_u32 v5, vcc_lo, v3, v5
	v_pack_b32_f16 v24, v25, v24
	s_wait_alu 0xfffd
	v_add_co_ci_u32_e32 v6, vcc_lo, v4, v6, vcc_lo
	v_lshrrev_b32_e32 v25, 5, v20
	v_add_co_u32 v9, vcc_lo, v3, v9
	v_mul_u32_u24_e32 v27, 0x5a0, v19
	s_wait_alu 0xfffd
	v_add_co_ci_u32_e32 v10, vcc_lo, v4, v10, vcc_lo
	v_mul_hi_u32 v25, 0x5b05b06, v25
	v_add_co_u32 v0, vcc_lo, v3, v13
	s_wait_alu 0xfffd
	v_add_co_ci_u32_e32 v1, vcc_lo, v4, v14, vcc_lo
	v_lshlrev_b64_e32 v[13:14], 2, v[11:12]
	v_add_nc_u32_e32 v11, 0x5a0, v11
	v_sub_nc_u32_e32 v22, v22, v27
	v_pack_b32_f16 v28, v31, v73
	s_clause 0x3
	global_store_b32 v[7:8], v2, off
	global_store_b32 v[5:6], v26, off
	;; [unrolled: 1-line block ×4, first 2 shown]
	v_lshlrev_b64_e32 v[0:1], 2, v[11:12]
	v_mad_u32_u24 v11, 0xb40, v19, v22
	v_mul_u32_u24_e32 v2, 0x5a0, v25
	v_add_co_u32 v5, vcc_lo, v3, v13
	v_sub_f16_e32 v77, v86, v77
	s_delay_alu instid0(VALU_DEP_4)
	v_lshlrev_b64_e32 v[7:8], 2, v[11:12]
	v_add_nc_u32_e32 v11, 0x5a0, v11
	v_sub_nc_u32_e32 v2, v20, v2
	v_sub_f16_e32 v17, v21, v39
	s_wait_alu 0xfffd
	v_add_co_ci_u32_e32 v6, vcc_lo, v4, v14, vcc_lo
	v_lshlrev_b64_e32 v[9:10], 2, v[11:12]
	v_mad_u32_u24 v11, 0xb40, v25, v2
	v_add_co_u32 v0, vcc_lo, v3, v0
	v_sub_f16_e32 v74, v79, v74
	v_sub_f16_e32 v15, v23, v41
	s_delay_alu instid0(VALU_DEP_4)
	v_lshlrev_b64_e32 v[13:14], 2, v[11:12]
	v_add_nc_u32_e32 v11, 0x5a0, v11
	s_wait_alu 0xfffd
	v_add_co_ci_u32_e32 v1, vcc_lo, v4, v1, vcc_lo
	v_add_co_u32 v7, vcc_lo, v3, v7
	v_fma_f16 v18, v86, 2.0, -v77
	v_fma_f16 v21, v21, 2.0, -v17
	s_wait_alu 0xfffd
	v_add_co_ci_u32_e32 v8, vcc_lo, v4, v8, vcc_lo
	v_fma_f16 v16, v79, 2.0, -v74
	v_fma_f16 v23, v23, 2.0, -v15
	v_add_co_u32 v9, vcc_lo, v3, v9
	v_lshlrev_b64_e32 v[11:12], 2, v[11:12]
	v_fma_f16 v72, v72, 2.0, -v68
	s_wait_alu 0xfffd
	v_add_co_ci_u32_e32 v10, vcc_lo, v4, v10, vcc_lo
	v_pack_b32_f16 v18, v21, v18
	v_add_co_u32 v13, vcc_lo, v3, v13
	v_pack_b32_f16 v17, v17, v77
	v_pack_b32_f16 v16, v23, v16
	s_wait_alu 0xfffd
	v_add_co_ci_u32_e32 v14, vcc_lo, v4, v14, vcc_lo
	v_pack_b32_f16 v15, v15, v74
	v_add_co_u32 v2, vcc_lo, v3, v11
	v_pack_b32_f16 v19, v29, v72
	s_wait_alu 0xfffd
	v_add_co_ci_u32_e32 v3, vcc_lo, v4, v12, vcc_lo
	v_pack_b32_f16 v4, v48, v68
	s_clause 0x5
	global_store_b32 v[5:6], v18, off
	global_store_b32 v[0:1], v17, off
	;; [unrolled: 1-line block ×6, first 2 shown]
.LBB0_15:
	s_nop 0
	s_sendmsg sendmsg(MSG_DEALLOC_VGPRS)
	s_endpgm
	.section	.rodata,"a",@progbits
	.p2align	6, 0x0
	.amdhsa_kernel fft_rtc_fwd_len2880_factors_10_6_6_2_2_2_wgs_96_tpt_96_halfLds_half_op_CI_CI_unitstride_sbrr_dirReg
		.amdhsa_group_segment_fixed_size 0
		.amdhsa_private_segment_fixed_size 0
		.amdhsa_kernarg_size 104
		.amdhsa_user_sgpr_count 2
		.amdhsa_user_sgpr_dispatch_ptr 0
		.amdhsa_user_sgpr_queue_ptr 0
		.amdhsa_user_sgpr_kernarg_segment_ptr 1
		.amdhsa_user_sgpr_dispatch_id 0
		.amdhsa_user_sgpr_private_segment_size 0
		.amdhsa_wavefront_size32 1
		.amdhsa_uses_dynamic_stack 0
		.amdhsa_enable_private_segment 0
		.amdhsa_system_sgpr_workgroup_id_x 1
		.amdhsa_system_sgpr_workgroup_id_y 0
		.amdhsa_system_sgpr_workgroup_id_z 0
		.amdhsa_system_sgpr_workgroup_info 0
		.amdhsa_system_vgpr_workitem_id 0
		.amdhsa_next_free_vgpr 95
		.amdhsa_next_free_sgpr 39
		.amdhsa_reserve_vcc 1
		.amdhsa_float_round_mode_32 0
		.amdhsa_float_round_mode_16_64 0
		.amdhsa_float_denorm_mode_32 3
		.amdhsa_float_denorm_mode_16_64 3
		.amdhsa_fp16_overflow 0
		.amdhsa_workgroup_processor_mode 1
		.amdhsa_memory_ordered 1
		.amdhsa_forward_progress 0
		.amdhsa_round_robin_scheduling 0
		.amdhsa_exception_fp_ieee_invalid_op 0
		.amdhsa_exception_fp_denorm_src 0
		.amdhsa_exception_fp_ieee_div_zero 0
		.amdhsa_exception_fp_ieee_overflow 0
		.amdhsa_exception_fp_ieee_underflow 0
		.amdhsa_exception_fp_ieee_inexact 0
		.amdhsa_exception_int_div_zero 0
	.end_amdhsa_kernel
	.text
.Lfunc_end0:
	.size	fft_rtc_fwd_len2880_factors_10_6_6_2_2_2_wgs_96_tpt_96_halfLds_half_op_CI_CI_unitstride_sbrr_dirReg, .Lfunc_end0-fft_rtc_fwd_len2880_factors_10_6_6_2_2_2_wgs_96_tpt_96_halfLds_half_op_CI_CI_unitstride_sbrr_dirReg
                                        ; -- End function
	.section	.AMDGPU.csdata,"",@progbits
; Kernel info:
; codeLenInByte = 21336
; NumSgprs: 41
; NumVgprs: 95
; ScratchSize: 0
; MemoryBound: 0
; FloatMode: 240
; IeeeMode: 1
; LDSByteSize: 0 bytes/workgroup (compile time only)
; SGPRBlocks: 5
; VGPRBlocks: 11
; NumSGPRsForWavesPerEU: 41
; NumVGPRsForWavesPerEU: 95
; Occupancy: 16
; WaveLimiterHint : 1
; COMPUTE_PGM_RSRC2:SCRATCH_EN: 0
; COMPUTE_PGM_RSRC2:USER_SGPR: 2
; COMPUTE_PGM_RSRC2:TRAP_HANDLER: 0
; COMPUTE_PGM_RSRC2:TGID_X_EN: 1
; COMPUTE_PGM_RSRC2:TGID_Y_EN: 0
; COMPUTE_PGM_RSRC2:TGID_Z_EN: 0
; COMPUTE_PGM_RSRC2:TIDIG_COMP_CNT: 0
	.text
	.p2alignl 7, 3214868480
	.fill 96, 4, 3214868480
	.type	__hip_cuid_526d837033bd7ee4,@object ; @__hip_cuid_526d837033bd7ee4
	.section	.bss,"aw",@nobits
	.globl	__hip_cuid_526d837033bd7ee4
__hip_cuid_526d837033bd7ee4:
	.byte	0                               ; 0x0
	.size	__hip_cuid_526d837033bd7ee4, 1

	.ident	"AMD clang version 19.0.0git (https://github.com/RadeonOpenCompute/llvm-project roc-6.4.0 25133 c7fe45cf4b819c5991fe208aaa96edf142730f1d)"
	.section	".note.GNU-stack","",@progbits
	.addrsig
	.addrsig_sym __hip_cuid_526d837033bd7ee4
	.amdgpu_metadata
---
amdhsa.kernels:
  - .args:
      - .actual_access:  read_only
        .address_space:  global
        .offset:         0
        .size:           8
        .value_kind:     global_buffer
      - .offset:         8
        .size:           8
        .value_kind:     by_value
      - .actual_access:  read_only
        .address_space:  global
        .offset:         16
        .size:           8
        .value_kind:     global_buffer
      - .actual_access:  read_only
        .address_space:  global
        .offset:         24
        .size:           8
        .value_kind:     global_buffer
      - .actual_access:  read_only
        .address_space:  global
        .offset:         32
        .size:           8
        .value_kind:     global_buffer
      - .offset:         40
        .size:           8
        .value_kind:     by_value
      - .actual_access:  read_only
        .address_space:  global
        .offset:         48
        .size:           8
        .value_kind:     global_buffer
      - .actual_access:  read_only
        .address_space:  global
        .offset:         56
        .size:           8
        .value_kind:     global_buffer
      - .offset:         64
        .size:           4
        .value_kind:     by_value
      - .actual_access:  read_only
        .address_space:  global
        .offset:         72
        .size:           8
        .value_kind:     global_buffer
      - .actual_access:  read_only
        .address_space:  global
        .offset:         80
        .size:           8
        .value_kind:     global_buffer
      - .actual_access:  read_only
        .address_space:  global
        .offset:         88
        .size:           8
        .value_kind:     global_buffer
      - .actual_access:  write_only
        .address_space:  global
        .offset:         96
        .size:           8
        .value_kind:     global_buffer
    .group_segment_fixed_size: 0
    .kernarg_segment_align: 8
    .kernarg_segment_size: 104
    .language:       OpenCL C
    .language_version:
      - 2
      - 0
    .max_flat_workgroup_size: 96
    .name:           fft_rtc_fwd_len2880_factors_10_6_6_2_2_2_wgs_96_tpt_96_halfLds_half_op_CI_CI_unitstride_sbrr_dirReg
    .private_segment_fixed_size: 0
    .sgpr_count:     41
    .sgpr_spill_count: 0
    .symbol:         fft_rtc_fwd_len2880_factors_10_6_6_2_2_2_wgs_96_tpt_96_halfLds_half_op_CI_CI_unitstride_sbrr_dirReg.kd
    .uniform_work_group_size: 1
    .uses_dynamic_stack: false
    .vgpr_count:     95
    .vgpr_spill_count: 0
    .wavefront_size: 32
    .workgroup_processor_mode: 1
amdhsa.target:   amdgcn-amd-amdhsa--gfx1201
amdhsa.version:
  - 1
  - 2
...

	.end_amdgpu_metadata
